;; amdgpu-corpus repo=ROCm/aiter kind=harvested arch=n/a opt=n/a

/root/src/amdgpu-assembly/repos/ROCm__aiter/hsa/gfx942/fmoe/silu/fmoe_fp8_g1u1_subGU_512.co:	file format elf64-amdgpu

Disassembly of section .text:

0000000000002b00 <fmoe_fp8_g1u1_subGU_512>:
	s_and_b32 s1, s1, 0xffff                                   // 000000002B00: 8601FF01 0000FFFF
	s_load_dwordx2 s[8:9], s[0:1], 0x0                         // 000000002B08: C0060200 00000000
	s_load_dwordx2 s[20:21], s[0:1], 0x10                      // 000000002B10: C0060500 00000010
	s_load_dwordx2 s[24:25], s[0:1], 0x20                      // 000000002B18: C0060600 00000020
	s_load_dwordx2 s[50:51], s[0:1], 0x30                      // 000000002B20: C0060C80 00000030
	s_load_dwordx2 s[12:13], s[0:1], 0x40                      // 000000002B28: C0060300 00000040
	s_load_dwordx2 s[28:29], s[0:1], 0x50                      // 000000002B30: C0060700 00000050
	s_load_dwordx2 s[32:33], s[0:1], 0x60                      // 000000002B38: C0060800 00000060
	s_load_dwordx2 s[16:17], s[0:1], 0x70                      // 000000002B40: C0060400 00000070
	s_load_dwordx2 s[36:37], s[0:1], 0x80                      // 000000002B48: C0060900 00000080
	s_load_dwordx2 s[44:45], s[0:1], 0x90                      // 000000002B50: C0060B00 00000090
	s_load_dwordx2 s[40:41], s[0:1], 0xa0                      // 000000002B58: C0060A00 000000A0
	s_load_dwordx2 s[46:47], s[0:1], 0xb0                      // 000000002B60: C0060B80 000000B0
	s_load_dword s64, s[0:1], 0xc0                             // 000000002B68: C0021000 000000C0
	s_load_dword s65, s[0:1], 0xd0                             // 000000002B70: C0021040 000000D0
	s_load_dword s66, s[0:1], 0xe0                             // 000000002B78: C0021080 000000E0
	s_load_dword s67, s[0:1], 0xf0                             // 000000002B80: C00210C0 000000F0
	s_load_dword s68, s[0:1], 0x100                            // 000000002B88: C0021100 00000100
	s_load_dword s69, s[0:1], 0x110                            // 000000002B90: C0021140 00000110
	s_load_dword s70, s[0:1], 0x120                            // 000000002B98: C0021180 00000120
	s_load_dword s71, s[0:1], 0x130                            // 000000002BA0: C00211C0 00000130
	s_load_dword s72, s[0:1], 0x140                            // 000000002BA8: C0021200 00000140
	s_load_dword s73, s[0:1], 0x150                            // 000000002BB0: C0021240 00000150
	s_load_dword s74, s[0:1], 0x160                            // 000000002BB8: C0021280 00000160
	s_load_dword s75, s[0:1], 0x170                            // 000000002BC0: C00212C0 00000170
	s_load_dword s76, s[0:1], 0x180                            // 000000002BC8: C0021300 00000180
	v_lshrrev_b32_e32 v1, 10, v0                               // 000000002BD0: 2002008A
	v_lshrrev_b32_e32 v2, 10, v1                               // 000000002BD4: 2004028A
	v_and_b32_e32 v2, 0x3ff, v2                                // 000000002BD8: 260404FF 000003FF
	v_and_b32_e32 v1, 0x3ff, v1                                // 000000002BE0: 260202FF 000003FF
	v_and_b32_e32 v0, 0x3ff, v0                                // 000000002BE8: 260000FF 000003FF
	v_lshrrev_b32_e32 v3, 6, v0                                // 000000002BF0: 20060086
	v_and_b32_e32 v0, 63, v0                                   // 000000002BF4: 260000BF
	s_mov_b32 s2, s2                                           // 000000002BF8: BE820002
	s_mov_b32 s3, s3                                           // 000000002BFC: BE830003
	s_mov_b32 s4, s4                                           // 000000002C00: BE840004
	v_readfirstlane_b32 s7, v3                                 // 000000002C04: 7E0E0503
	s_waitcnt lgkmcnt(0)                                       // 000000002C08: BF8CC07F
	s_and_b32 s51, s51, 0xffff                                 // 000000002C0C: 8633FF33 0000FFFF
	s_load_dword s50, s[50:51], 0x0                            // 000000002C14: C0020C99 00000000
	s_and_b32 s45, s45, 0xffff                                 // 000000002C1C: 862DFF2D 0000FFFF
	s_and_b32 s47, s47, 0xffff                                 // 000000002C24: 862FFF2F 0000FFFF
	s_and_b32 s9, s9, 0xffff                                   // 000000002C2C: 8609FF09 0000FFFF
	s_mul_i32 s60, s66, s68                                    // 000000002C34: 923C4442
	s_mul_i32 s61, s66, 4                                      // 000000002C38: 923D8442
	s_mov_b32 s22, s60                                         // 000000002C3C: BE96003C
	s_mov_b32 s26, 0x80000000                                  // 000000002C40: BE9A00FF 80000000
	s_mov_b32 s14, 0x80000000                                  // 000000002C48: BE8E00FF 80000000
	s_mov_b32 s42, 0x80000000                                  // 000000002C50: BEAA00FF 80000000
	s_mov_b32 s30, s61                                         // 000000002C58: BE9E003D
	s_mov_b32 s34, 0x800                                       // 000000002C5C: BEA200FF 00000800
	s_mov_b32 s38, 0x800                                       // 000000002C64: BEA600FF 00000800
	s_mov_b32 s18, 0x80000000                                  // 000000002C6C: BE9200FF 80000000
	s_mov_b32 s23, 0x20000                                     // 000000002C74: BE9700FF 00020000
	s_mov_b32 s27, 0x20000                                     // 000000002C7C: BE9B00FF 00020000
	s_mov_b32 s15, 0x20000                                     // 000000002C84: BE8F00FF 00020000
	s_mov_b32 s43, 0x20000                                     // 000000002C8C: BEAB00FF 00020000
	s_mov_b32 s31, 0x20000                                     // 000000002C94: BE9F00FF 00020000
	s_mov_b32 s35, 0x20000                                     // 000000002C9C: BEA300FF 00020000
	s_mov_b32 s39, 0x20000                                     // 000000002CA4: BEA700FF 00020000
	s_mov_b32 s19, 0x20000                                     // 000000002CAC: BE9300FF 00020000
	s_and_b32 s21, s21, 0xffff                                 // 000000002CB4: 8615FF15 0000FFFF
	s_and_b32 s25, s25, 0xffff                                 // 000000002CBC: 8619FF19 0000FFFF
	s_and_b32 s13, s13, 0xffff                                 // 000000002CC4: 860DFF0D 0000FFFF
	s_and_b32 s41, s41, 0xffff                                 // 000000002CCC: 8629FF29 0000FFFF
	s_and_b32 s29, s29, 0xffff                                 // 000000002CD4: 861DFF1D 0000FFFF
	s_and_b32 s33, s33, 0xffff                                 // 000000002CDC: 8621FF21 0000FFFF
	s_and_b32 s37, s37, 0xffff                                 // 000000002CE4: 8625FF25 0000FFFF
	s_and_b32 s17, s17, 0xffff                                 // 000000002CEC: 8611FF11 0000FFFF
	s_or_b32 s21, s21, 0x40000                                 // 000000002CF4: 8715FF15 00040000
	s_or_b32 s25, s25, 0x40000                                 // 000000002CFC: 8719FF19 00040000
	s_or_b32 s13, s13, 0x40000                                 // 000000002D04: 870DFF0D 00040000
	s_or_b32 s41, s41, 0x40000                                 // 000000002D0C: 8729FF29 00040000
	s_or_b32 s29, s29, 0x40000                                 // 000000002D14: 871DFF1D 00040000
	s_or_b32 s33, s33, 0x40000                                 // 000000002D1C: 8721FF21 00040000
	s_or_b32 s37, s37, 0x40000                                 // 000000002D24: 8725FF25 00040000
	s_or_b32 s17, s17, 0x40000                                 // 000000002D2C: 8711FF11 00040000
	v_accvgpr_write_b32 a255, 0                                // 000000002D34: D3D940FF 18000080
	v_mov_b32_e32 v255, 0                                      // 000000002D3C: 7FFE0280
	s_waitcnt lgkmcnt(0)                                       // 000000002D40: BF8CC07F
	s_mul_i32 s60, s3, 32                                      // 000000002D44: 923CA003
	s_cmp_lt_i32 s60, s50                                      // 000000002D48: BF04323C
	s_cbranch_scc0 label_2617                                  // 000000002D4C: BF842583
	s_mov_b32 s80, 0                                           // 000000002D50: BED00080
	s_mov_b32 s81, s64                                         // 000000002D54: BED10040
	s_mul_i32 s60, s3, 4                                       // 000000002D58: 923C8403
	s_add_u32 s46, s60, s46                                    // 000000002D5C: 802E2E3C
	s_addc_u32 s47, 0, s47                                     // 000000002D60: 822F2F80
	s_load_dword s5, s[46:47], 0x0                             // 000000002D64: C0020157 00000000
	s_mul_i32 s60, s3, 32                                      // 000000002D6C: 923CA003
	s_mul_i32 s60, 4, s60                                      // 000000002D70: 923C3C84
	v_and_b32_e32 v52, 15, v0                                  // 000000002D74: 2668008F
	v_lshlrev_b32_e32 v52, 2, v52                              // 000000002D78: 24686882
	v_add_u32_e32 v52, s60, v52                                // 000000002D7C: 6868683C
	v_mov_b32_e32 v53, 0                                       // 000000002D80: 7E6A0280
	global_load_dword v6, v52, s[44:45]                        // 000000002D84: DC508000 062C0034
	v_add_u32_e32 v52, 64, v52                                 // 000000002D8C: 686868C0
	global_load_dword v7, v52, s[44:45]                        // 000000002D90: DC508000 072C0034
	s_mul_i32 s60, s3, 32                                      // 000000002D98: 923CA003
	s_add_u32 s60, s7, s60                                     // 000000002D9C: 803C3C07
	s_mul_i32 s60, 4, s60                                      // 000000002DA0: 923C3C84
	s_add_u32 s44, s60, s44                                    // 000000002DA4: 802C2C3C
	s_addc_u32 s45, 0, s45                                     // 000000002DA8: 822D2D80
	s_load_dword s82, s[44:45], 0x0                            // 000000002DAC: C0021496 00000000
	s_load_dword s83, s[44:45], 0x10                           // 000000002DB4: C00214D6 00000010
	s_load_dword s84, s[44:45], 0x20                           // 000000002DBC: C0021516 00000020
	s_load_dword s85, s[44:45], 0x30                           // 000000002DC4: C0021556 00000030
	s_load_dword s86, s[44:45], 0x40                           // 000000002DCC: C0021596 00000040
	s_load_dword s87, s[44:45], 0x50                           // 000000002DD4: C00215D6 00000050
	s_load_dword s88, s[44:45], 0x60                           // 000000002DDC: C0021616 00000060
	s_load_dword s89, s[44:45], 0x70                           // 000000002DE4: C0021656 00000070
	s_waitcnt lgkmcnt(0)                                       // 000000002DEC: BF8CC07F
	v_lshlrev_b32_e32 v52, 2, v0                               // 000000002DF0: 24680082
	s_and_b32 s82, s82, 0xffffff                               // 000000002DF4: 8652FF52 00FFFFFF
	s_mul_i32 s60, s82, s68                                    // 000000002DFC: 923C4452
	v_add_u32_e64 v26, v52, s60                                // 000000002E00: D134001A 00007934
	s_and_b32 s83, s83, 0xffffff                               // 000000002E08: 8653FF53 00FFFFFF
	s_mul_i32 s60, s83, s68                                    // 000000002E10: 923C4453
	v_add_u32_e64 v27, v52, s60                                // 000000002E14: D134001B 00007934
	s_and_b32 s84, s84, 0xffffff                               // 000000002E1C: 8654FF54 00FFFFFF
	s_mul_i32 s60, s84, s68                                    // 000000002E24: 923C4454
	v_add_u32_e64 v28, v52, s60                                // 000000002E28: D134001C 00007934
	s_and_b32 s85, s85, 0xffffff                               // 000000002E30: 8655FF55 00FFFFFF
	s_mul_i32 s60, s85, s68                                    // 000000002E38: 923C4455
	v_add_u32_e64 v29, v52, s60                                // 000000002E3C: D134001D 00007934
	s_and_b32 s86, s86, 0xffffff                               // 000000002E44: 8656FF56 00FFFFFF
	s_mul_i32 s60, s86, s68                                    // 000000002E4C: 923C4456
	v_add_u32_e64 v30, v52, s60                                // 000000002E50: D134001E 00007934
	s_and_b32 s87, s87, 0xffffff                               // 000000002E58: 8657FF57 00FFFFFF
	s_mul_i32 s60, s87, s68                                    // 000000002E60: 923C4457
	v_add_u32_e64 v31, v52, s60                                // 000000002E64: D134001F 00007934
	s_and_b32 s88, s88, 0xffffff                               // 000000002E6C: 8658FF58 00FFFFFF
	s_mul_i32 s60, s88, s68                                    // 000000002E74: 923C4458
	v_add_u32_e64 v32, v52, s60                                // 000000002E78: D1340020 00007934
	s_and_b32 s89, s89, 0xffffff                               // 000000002E80: 8659FF59 00FFFFFF
	s_mul_i32 s60, s89, s68                                    // 000000002E88: 923C4459
	v_add_u32_e64 v33, v52, s60                                // 000000002E8C: D1340021 00007934
	v_lshlrev_b32_e32 v52, 2, v0                               // 000000002E94: 24680082
	s_mul_i32 s60, s82, s71                                    // 000000002E98: 923C4752
	v_add_u32_e64 v80, v52, s60                                // 000000002E9C: D1340050 00007934
	v_mov_b32_e32 v81, 0                                       // 000000002EA4: 7EA20280
	s_mul_i32 s60, s83, s71                                    // 000000002EA8: 923C4753
	v_add_u32_e64 v82, v52, s60                                // 000000002EAC: D1340052 00007934
	v_mov_b32_e32 v83, 0                                       // 000000002EB4: 7EA60280
	s_mul_i32 s60, s84, s71                                    // 000000002EB8: 923C4754
	v_add_u32_e64 v84, v52, s60                                // 000000002EBC: D1340054 00007934
	v_mov_b32_e32 v85, 0                                       // 000000002EC4: 7EAA0280
	s_mul_i32 s60, s85, s71                                    // 000000002EC8: 923C4755
	v_add_u32_e64 v86, v52, s60                                // 000000002ECC: D1340056 00007934
	v_mov_b32_e32 v87, 0                                       // 000000002ED4: 7EAE0280
	s_mul_i32 s60, s86, s71                                    // 000000002ED8: 923C4756
	v_add_u32_e64 v88, v52, s60                                // 000000002EDC: D1340058 00007934
	v_mov_b32_e32 v89, 0                                       // 000000002EE4: 7EB20280
	s_mul_i32 s60, s87, s71                                    // 000000002EE8: 923C4757
	v_add_u32_e64 v90, v52, s60                                // 000000002EEC: D134005A 00007934
	v_mov_b32_e32 v91, 0                                       // 000000002EF4: 7EB60280
	s_mul_i32 s60, s88, s71                                    // 000000002EF8: 923C4758
	v_add_u32_e64 v92, v52, s60                                // 000000002EFC: D134005C 00007934
	v_mov_b32_e32 v93, 0                                       // 000000002F04: 7EBA0280
	s_mul_i32 s60, s89, s71                                    // 000000002F08: 923C4759
	v_add_u32_e64 v94, v52, s60                                // 000000002F0C: D134005E 00007934
	v_mov_b32_e32 v95, 0                                       // 000000002F14: 7EBE0280
	s_mul_i32 s60, s7, 0x820                                   // 000000002F18: 923CFF07 00000820
	s_add_u32 s50, 0, s60                                      // 000000002F20: 80323C80
	s_add_u32 s51, 0x2080, s50                                 // 000000002F24: 803332FF 00002080
	v_lshrrev_b32_e32 v52, 4, v0                               // 000000002F2C: 20680084
	v_lshlrev_b32_e32 v53, 2, v52                              // 000000002F30: 246A6882
	v_and_b32_e32 v52, 15, v0                                  // 000000002F34: 2668008F
	v_lshrrev_b32_e32 v54, 2, v52                              // 000000002F38: 206C6882
	v_lshlrev_b32_e32 v54, 6, v54                              // 000000002F3C: 246C6C86
	v_add_u32_e32 v53, v54, v53                                // 000000002F40: 686A6B36
	v_and_b32_e32 v52, 3, v0                                   // 000000002F44: 26680083
	v_mul_i32_i24_e32 v54, 0x208, v52                          // 000000002F48: 0C6C68FF 00000208
	v_add_u32_e32 v53, v54, v53                                // 000000002F50: 686A6B36
	v_lshlrev_b32_e32 v2, 2, v53                               // 000000002F54: 24046A82
	s_mul_i32 s60, s2, 0x200                                   // 000000002F58: 923CFF02 00000200
	s_mul_i32 s60, s60, s69                                    // 000000002F60: 923C453C
	s_mul_i32 s61, s5, s72                                     // 000000002F64: 923D4805
	s_add_u32 s60, s61, s60                                    // 000000002F68: 803C3C3D
	s_add_u32 s24, s60, s24                                    // 000000002F6C: 8018183C
	s_addc_u32 s25, 0, s25                                     // 000000002F70: 82191980
	s_mul_i32 s60, s7, 16                                      // 000000002F74: 923C9007
	s_mul_i32 s60, s60, s69                                    // 000000002F78: 923C453C
	v_lshlrev_b32_e32 v34, 4, v0                               // 000000002F7C: 24440084
	v_add_u32_e32 v34, s60, v34                                // 000000002F80: 6844443C
	s_mul_i32 s60, 64, s69                                     // 000000002F84: 923C45C0
	v_add_u32_e32 v35, s60, v34                                // 000000002F88: 6846443C
	v_add_u32_e32 v36, s60, v35                                // 000000002F8C: 6848463C
	v_add_u32_e32 v37, s60, v36                                // 000000002F90: 684A483C
	v_add_u32_e32 v38, s60, v37                                // 000000002F94: 684C4A3C
	v_add_u32_e32 v39, s60, v38                                // 000000002F98: 684E4C3C
	v_add_u32_e32 v40, s60, v39                                // 000000002F9C: 68504E3C
	v_add_u32_e32 v41, s60, v40                                // 000000002FA0: 6852503C
	s_mov_b32 s92, s24                                         // 000000002FA4: BEDC0018
	s_mov_b32 s93, s25                                         // 000000002FA8: BEDD0019
	s_mov_b32 s94, s26                                         // 000000002FAC: BEDE001A
	s_mov_b32 s95, s27                                         // 000000002FB0: BEDF001B
	s_mul_i32 s60, s69, s65                                    // 000000002FB4: 923C4145
	s_add_u32 s92, s60, s92                                    // 000000002FB8: 805C5C3C
	s_addc_u32 s93, 0, s93                                     // 000000002FBC: 825D5D80
	s_mul_i32 s60, s2, 0x2000                                  // 000000002FC0: 923CFF02 00002000
	s_mul_i32 s61, s5, s73                                     // 000000002FC8: 923D4905
	s_add_u32 s60, s61, s60                                    // 000000002FCC: 803C3C3D
	s_add_u32 s12, s60, s12                                    // 000000002FD0: 800C0C3C
	s_addc_u32 s13, 0, s13                                     // 000000002FD4: 820D0D80
	s_mul_i32 s60, s7, 16                                      // 000000002FD8: 923C9007
	s_mul_i32 s60, s60, s70                                    // 000000002FDC: 923C463C
	v_lshlrev_b32_e32 v42, 4, v0                               // 000000002FE0: 24540084
	v_add_u32_e32 v42, s60, v42                                // 000000002FE4: 6854543C
	s_mul_i32 s60, 64, s70                                     // 000000002FE8: 923C46C0
	v_add_u32_e32 v43, s60, v42                                // 000000002FEC: 6856543C
	v_add_u32_e32 v44, s60, v43                                // 000000002FF0: 6858563C
	v_add_u32_e32 v45, s60, v44                                // 000000002FF4: 685A583C
	s_mul_i32 s60, s70, 0x100                                  // 000000002FF8: 923CFF46 00000100
	s_mov_b32 s78, 0x400                                       // 000000003000: BECE00FF 00000400
	s_mul_i32 s61, s78, 7                                      // 000000003008: 923D874E
	s_sub_u32 s56, s60, s61                                    // 00000000300C: 80B83D3C
	s_mul_i32 s60, s3, 32                                      // 000000003010: 923CA003
	s_mul_i32 s60, 4, s60                                      // 000000003014: 923C3C84
	s_add_u32 s40, s60, s40                                    // 000000003018: 8028283C
	s_addc_u32 s41, 0, s41                                     // 00000000301C: 82292980
	v_and_b32_e32 v52, 15, v0                                  // 000000003020: 2668008F
	v_lshlrev_b32_e32 v8, 2, v52                               // 000000003024: 24106882
	v_add_u32_e32 v9, 64, v8                                   // 000000003028: 681210C0
	v_lshrrev_b32_e32 v52, 4, v0                               // 00000000302C: 20680084
	v_lshlrev_b32_e32 v53, 2, v52                              // 000000003030: 246A6882
	v_and_b32_e32 v52, 15, v0                                  // 000000003034: 2668008F
	v_lshrrev_b32_e32 v54, 2, v52                              // 000000003038: 206C6882
	v_lshlrev_b32_e32 v54, 6, v54                              // 00000000303C: 246C6C86
	v_add_u32_e32 v53, v54, v53                                // 000000003040: 686A6B36
	v_and_b32_e32 v52, 3, v0                                   // 000000003044: 26680083
	v_add_u32_e32 v53, v52, v53                                // 000000003048: 686A6B34
	v_lshlrev_b32_e32 v10, 2, v53                              // 00000000304C: 24146A82
	v_add_u32_e32 v11, 0x400, v10                              // 000000003050: 681614FF 00000400
	s_mul_i32 s60, s7, 16                                      // 000000003058: 923C9007
	s_mul_i32 s60, s60, 4                                      // 00000000305C: 923C843C
	v_add_u32_e32 v10, s60, v10                                // 000000003060: 6814143C
	v_add_u32_e32 v11, s60, v11                                // 000000003064: 6816163C
	v_mov_b32_e32 v5, v10                                      // 000000003068: 7E0A030A
	s_mul_i32 s60, s2, 0x200                                   // 00000000306C: 923CFF02 00000200
	s_mul_i32 s60, s60, 4                                      // 000000003074: 923C843C
	s_mul_i32 s61, s5, s74                                     // 000000003078: 923D4A05
	s_add_u32 s61, s61, s60                                    // 00000000307C: 803D3C3D
	s_mul_i32 s62, s5, s76                                     // 000000003080: 923E4C05
	s_add_u32 s62, s62, s60                                    // 000000003084: 803E3C3E
	s_add_u32 s32, s61, s32                                    // 000000003088: 8020203D
	s_addc_u32 s33, 0, s33                                     // 00000000308C: 82212180
	s_add_u32 s36, s62, s36                                    // 000000003090: 8024243E
	s_addc_u32 s37, 0, s37                                     // 000000003094: 82252580
	s_mul_i32 s60, s5, s75                                     // 000000003098: 923C4B05
	s_add_u32 s16, s60, s16                                    // 00000000309C: 8010103C
	s_addc_u32 s17, 0, s17                                     // 0000000030A0: 82111180
	s_mov_b32 s57, 0x100                                       // 0000000030A4: BEB900FF 00000100
	s_mov_b32 s58, 0x1000                                      // 0000000030AC: BEBA00FF 00001000
	s_mov_b32 s79, 0x400                                       // 0000000030B4: BECF00FF 00000400
	s_mov_b32 s59, 0x200                                       // 0000000030BC: BEBB00FF 00000200
	s_mov_b32 s90, s58                                         // 0000000030C4: BEDA003A
	s_mov_b32 s52, 0x7060302                                   // 0000000030C8: BEB400FF 07060302
	s_mov_b32 s53, 0x400                                       // 0000000030D0: BEB500FF 00000400
	s_mov_b32 s54, 0x40100                                     // 0000000030D8: BEB600FF 00040100
	s_mov_b32 s55, 0x4020100                                   // 0000000030E0: BEB700FF 04020100
	s_mov_b32 s6, 0x3fb8aa3b                                   // 0000000030E8: BE8600FF 3FB8AA3B
	s_mov_b32 s77, 0xbd92220c                                  // 0000000030F0: BECD00FF BD92220C
	s_mov_b32 m0, s50                                          // 0000000030F8: BEFC0032
	v_mov_b32_e32 v1, 0xbfcc4231                               // 0000000030FC: 7E0202FF BFCC4231
	v_mov_b32_e32 v47, 0xffff0000                              // 000000003104: 7E5E02FF FFFF0000
	v_mov_b32_e32 v48, 0x7fff0000                              // 00000000310C: 7E6002FF 7FFF0000
	v_mov_b32_e32 v49, 0x7fff                                  // 000000003114: 7E6202FF 00007FFF
	s_waitcnt vmcnt(0) expcnt(0) lgkmcnt(0)                    // 00000000311C: BF8C0000
	v_and_b32_e32 v6, 0xffffff, v6                             // 000000003120: 260C0CFF 00FFFFFF
	v_and_b32_e32 v7, 0xffffff, v7                             // 000000003128: 260E0EFF 00FFFFFF
	v_lshlrev_b32_e32 v6, 2, v6                                // 000000003130: 240C0C82
	v_lshlrev_b32_e32 v7, 2, v7                                // 000000003134: 240E0E82
	buffer_load_dword v14, v6, s[28:31], 0 offen               // 000000003138: E0501000 80070E06
	buffer_load_dword v15, v7, s[28:31], 0 offen               // 000000003140: E0501000 80070F07
	buffer_load_dword v16, v10, s[32:35], 0 offen              // 000000003148: E0501000 8008100A
	buffer_load_dword v17, v11, s[32:35], 0 offen              // 000000003150: E0501000 8008110B
	s_mul_i32 s60, 4, s65                                      // 000000003158: 923C4184
	s_add_u32 s32, s60, s32                                    // 00000000315C: 8020203C
	s_addc_u32 s33, 0, s33                                     // 000000003160: 82212180
	buffer_load_dword v50, v10, s[32:35], 0 offen              // 000000003164: E0501000 8008320A
	buffer_load_dword v51, v11, s[32:35], 0 offen              // 00000000316C: E0501000 8008330B
	buffer_load_dword v20, v8, s[40:43], 0 offen               // 000000003174: E0501000 800A1408
	buffer_load_dword v21, v9, s[40:43], 0 offen               // 00000000317C: E0501000 800A1509
	buffer_load_dword v26, s[20:23], 0 offen lds               // 000000003184: E0511000 8005001A
	s_add_u32 m0, 0x100, s50                                   // 00000000318C: 807C32FF 00000100
	buffer_load_dword v27, s[20:23], 0 offen lds               // 000000003194: E0511000 8005001B
	s_add_u32 m0, 0x200, s50                                   // 00000000319C: 807C32FF 00000200
	buffer_load_dword v28, s[20:23], 0 offen lds               // 0000000031A4: E0511000 8005001C
	s_add_u32 m0, 0x300, s50                                   // 0000000031AC: 807C32FF 00000300
	buffer_load_dword v29, s[20:23], 0 offen lds               // 0000000031B4: E0511000 8005001D
	s_add_u32 m0, 0x400, s50                                   // 0000000031BC: 807C32FF 00000400
	buffer_load_dword v30, s[20:23], 0 offen lds               // 0000000031C4: E0511000 8005001E
	s_add_u32 m0, 0x500, s50                                   // 0000000031CC: 807C32FF 00000500
	buffer_load_dword v31, s[20:23], 0 offen lds               // 0000000031D4: E0511000 8005001F
	s_add_u32 m0, 0x600, s50                                   // 0000000031DC: 807C32FF 00000600
	buffer_load_dword v32, s[20:23], 0 offen lds               // 0000000031E4: E0511000 80050020
	s_add_u32 m0, 0x700, s50                                   // 0000000031EC: 807C32FF 00000700
	buffer_load_dword v33, s[20:23], 0 offen lds               // 0000000031F4: E0511000 80050021
	s_add_u32 m0, 0, s51                                       // 0000000031FC: 807C3380
	s_add_u32 s20, s57, s20                                    // 000000003200: 80141439
	s_addc_u32 s21, 0, s21                                     // 000000003204: 82151580
	buffer_load_dwordx4 a[0:3], v34, s[24:27], 0 offen         // 000000003208: E05C1000 80860022
	buffer_load_dwordx4 a[4:7], v34, s[24:27], 0 offen offset:1024// 000000003210: E05C1400 80860422
	buffer_load_dwordx4 a[8:11], v34, s[24:27], 0 offen offset:2048// 000000003218: E05C1800 80860822
	buffer_load_dwordx4 a[12:15], v34, s[24:27], 0 offen offset:3072// 000000003220: E05C1C00 80860C22
	buffer_load_dwordx4 a[16:19], v35, s[24:27], 0 offen       // 000000003228: E05C1000 80861023
	buffer_load_dwordx4 a[20:23], v35, s[24:27], 0 offen offset:1024// 000000003230: E05C1400 80861423
	buffer_load_dwordx4 a[24:27], v35, s[24:27], 0 offen offset:2048// 000000003238: E05C1800 80861823
	buffer_load_dwordx4 a[28:31], v35, s[24:27], 0 offen offset:3072// 000000003240: E05C1C00 80861C23
	buffer_load_dwordx4 a[32:35], v36, s[24:27], 0 offen       // 000000003248: E05C1000 80862024
	buffer_load_dwordx4 a[36:39], v36, s[24:27], 0 offen offset:1024// 000000003250: E05C1400 80862424
	buffer_load_dwordx4 a[40:43], v36, s[24:27], 0 offen offset:2048// 000000003258: E05C1800 80862824
	buffer_load_dwordx4 a[44:47], v36, s[24:27], 0 offen offset:3072// 000000003260: E05C1C00 80862C24
	buffer_load_dwordx4 a[48:51], v37, s[24:27], 0 offen       // 000000003268: E05C1000 80863025
	buffer_load_dwordx4 a[52:55], v37, s[24:27], 0 offen offset:1024// 000000003270: E05C1400 80863425
	buffer_load_dwordx4 a[56:59], v37, s[24:27], 0 offen offset:2048// 000000003278: E05C1800 80863825
	buffer_load_dwordx4 a[60:63], v37, s[24:27], 0 offen offset:3072// 000000003280: E05C1C00 80863C25
	buffer_load_dwordx4 a[64:67], v38, s[24:27], 0 offen       // 000000003288: E05C1000 80864026
	buffer_load_dwordx4 a[68:71], v38, s[24:27], 0 offen offset:1024// 000000003290: E05C1400 80864426
	buffer_load_dwordx4 a[72:75], v38, s[24:27], 0 offen offset:2048// 000000003298: E05C1800 80864826
	buffer_load_dwordx4 a[76:79], v38, s[24:27], 0 offen offset:3072// 0000000032A0: E05C1C00 80864C26
	buffer_load_dwordx4 a[80:83], v39, s[24:27], 0 offen       // 0000000032A8: E05C1000 80865027
	buffer_load_dwordx4 a[84:87], v39, s[24:27], 0 offen offset:1024// 0000000032B0: E05C1400 80865427
	buffer_load_dwordx4 a[88:91], v39, s[24:27], 0 offen offset:2048// 0000000032B8: E05C1800 80865827
	buffer_load_dwordx4 a[92:95], v39, s[24:27], 0 offen offset:3072// 0000000032C0: E05C1C00 80865C27
	buffer_load_dwordx4 a[96:99], v40, s[24:27], 0 offen       // 0000000032C8: E05C1000 80866028
	buffer_load_dwordx4 a[100:103], v40, s[24:27], 0 offen offset:1024// 0000000032D0: E05C1400 80866428
	buffer_load_dwordx4 a[104:107], v40, s[24:27], 0 offen offset:2048// 0000000032D8: E05C1800 80866828
	buffer_load_dwordx4 a[108:111], v40, s[24:27], 0 offen offset:3072// 0000000032E0: E05C1C00 80866C28
	buffer_load_dwordx4 a[112:115], v41, s[24:27], 0 offen     // 0000000032E8: E05C1000 80867029
	buffer_load_dwordx4 a[116:119], v41, s[24:27], 0 offen offset:1024// 0000000032F0: E05C1400 80867429
	buffer_load_dwordx4 a[120:123], v41, s[24:27], 0 offen offset:2048// 0000000032F8: E05C1800 80867829
	buffer_load_dwordx4 a[124:127], v41, s[24:27], 0 offen offset:3072// 000000003300: E05C1C00 80867C29
	s_add_u32 s24, s58, s24                                    // 000000003308: 8018183A
	s_addc_u32 s25, 0, s25                                     // 00000000330C: 82191980
	v_mov_b32_e32 v128, 0                                      // 000000003310: 7F000280
	v_mov_b32_e32 v64, 0                                       // 000000003314: 7E800280
	v_mov_b32_e32 v129, 0                                      // 000000003318: 7F020280
	v_mov_b32_e32 v65, 0                                       // 00000000331C: 7E820280
	v_mov_b32_e32 v130, 0                                      // 000000003320: 7F040280
	v_mov_b32_e32 v66, 0                                       // 000000003324: 7E840280
	v_mov_b32_e32 v131, 0                                      // 000000003328: 7F060280
	v_mov_b32_e32 v67, 0                                       // 00000000332C: 7E860280
	v_mov_b32_e32 v132, 0                                      // 000000003330: 7F080280
	v_mov_b32_e32 v68, 0                                       // 000000003334: 7E880280
	v_mov_b32_e32 v133, 0                                      // 000000003338: 7F0A0280
	v_mov_b32_e32 v69, 0                                       // 00000000333C: 7E8A0280
	v_mov_b32_e32 v134, 0                                      // 000000003340: 7F0C0280
	v_mov_b32_e32 v70, 0                                       // 000000003344: 7E8C0280
	v_mov_b32_e32 v135, 0                                      // 000000003348: 7F0E0280
	v_mov_b32_e32 v71, 0                                       // 00000000334C: 7E8E0280
	v_mov_b32_e32 v136, 0                                      // 000000003350: 7F100280
	v_mov_b32_e32 v72, 0                                       // 000000003354: 7E900280
	v_mov_b32_e32 v137, 0                                      // 000000003358: 7F120280
	v_mov_b32_e32 v73, 0                                       // 00000000335C: 7E920280
	v_mov_b32_e32 v138, 0                                      // 000000003360: 7F140280
	v_mov_b32_e32 v74, 0                                       // 000000003364: 7E940280
	v_mov_b32_e32 v139, 0                                      // 000000003368: 7F160280
	v_mov_b32_e32 v75, 0                                       // 00000000336C: 7E960280
	v_mov_b32_e32 v140, 0                                      // 000000003370: 7F180280
	v_mov_b32_e32 v76, 0                                       // 000000003374: 7E980280
	v_mov_b32_e32 v141, 0                                      // 000000003378: 7F1A0280
	v_mov_b32_e32 v77, 0                                       // 00000000337C: 7E9A0280
	v_mov_b32_e32 v142, 0                                      // 000000003380: 7F1C0280
	v_mov_b32_e32 v78, 0                                       // 000000003384: 7E9C0280
	v_mov_b32_e32 v143, 0                                      // 000000003388: 7F1E0280
	v_mov_b32_e32 v79, 0                                       // 00000000338C: 7E9E0280
	v_mov_b32_e32 v144, 0                                      // 000000003390: 7F200280
	v_mov_b32_e32 v80, 0                                       // 000000003394: 7EA00280
	v_mov_b32_e32 v145, 0                                      // 000000003398: 7F220280
	v_mov_b32_e32 v81, 0                                       // 00000000339C: 7EA20280
	v_mov_b32_e32 v146, 0                                      // 0000000033A0: 7F240280
	v_mov_b32_e32 v82, 0                                       // 0000000033A4: 7EA40280
	v_mov_b32_e32 v147, 0                                      // 0000000033A8: 7F260280
	v_mov_b32_e32 v83, 0                                       // 0000000033AC: 7EA60280
	v_mov_b32_e32 v148, 0                                      // 0000000033B0: 7F280280
	v_mov_b32_e32 v84, 0                                       // 0000000033B4: 7EA80280
	v_mov_b32_e32 v149, 0                                      // 0000000033B8: 7F2A0280
	v_mov_b32_e32 v85, 0                                       // 0000000033BC: 7EAA0280
	v_mov_b32_e32 v150, 0                                      // 0000000033C0: 7F2C0280
	v_mov_b32_e32 v86, 0                                       // 0000000033C4: 7EAC0280
	v_mov_b32_e32 v151, 0                                      // 0000000033C8: 7F2E0280
	v_mov_b32_e32 v87, 0                                       // 0000000033CC: 7EAE0280
	v_mov_b32_e32 v152, 0                                      // 0000000033D0: 7F300280
	v_mov_b32_e32 v88, 0                                       // 0000000033D4: 7EB00280
	v_mov_b32_e32 v153, 0                                      // 0000000033D8: 7F320280
	v_mov_b32_e32 v89, 0                                       // 0000000033DC: 7EB20280
	v_mov_b32_e32 v154, 0                                      // 0000000033E0: 7F340280
	v_mov_b32_e32 v90, 0                                       // 0000000033E4: 7EB40280
	v_mov_b32_e32 v155, 0                                      // 0000000033E8: 7F360280
	v_mov_b32_e32 v91, 0                                       // 0000000033EC: 7EB60280
	v_mov_b32_e32 v156, 0                                      // 0000000033F0: 7F380280
	v_mov_b32_e32 v92, 0                                       // 0000000033F4: 7EB80280
	v_mov_b32_e32 v157, 0                                      // 0000000033F8: 7F3A0280
	v_mov_b32_e32 v93, 0                                       // 0000000033FC: 7EBA0280
	v_mov_b32_e32 v158, 0                                      // 000000003400: 7F3C0280
	v_mov_b32_e32 v94, 0                                       // 000000003404: 7EBC0280
	v_mov_b32_e32 v159, 0                                      // 000000003408: 7F3E0280
	v_mov_b32_e32 v95, 0                                       // 00000000340C: 7EBE0280
	v_mov_b32_e32 v160, 0                                      // 000000003410: 7F400280
	v_mov_b32_e32 v96, 0                                       // 000000003414: 7EC00280
	v_mov_b32_e32 v161, 0                                      // 000000003418: 7F420280
	v_mov_b32_e32 v97, 0                                       // 00000000341C: 7EC20280
	v_mov_b32_e32 v162, 0                                      // 000000003420: 7F440280
	v_mov_b32_e32 v98, 0                                       // 000000003424: 7EC40280
	v_mov_b32_e32 v163, 0                                      // 000000003428: 7F460280
	v_mov_b32_e32 v99, 0                                       // 00000000342C: 7EC60280
	v_mov_b32_e32 v164, 0                                      // 000000003430: 7F480280
	v_mov_b32_e32 v100, 0                                      // 000000003434: 7EC80280
	v_mov_b32_e32 v165, 0                                      // 000000003438: 7F4A0280
	v_mov_b32_e32 v101, 0                                      // 00000000343C: 7ECA0280
	v_mov_b32_e32 v166, 0                                      // 000000003440: 7F4C0280
	v_mov_b32_e32 v102, 0                                      // 000000003444: 7ECC0280
	v_mov_b32_e32 v167, 0                                      // 000000003448: 7F4E0280
	v_mov_b32_e32 v103, 0                                      // 00000000344C: 7ECE0280
	v_mov_b32_e32 v168, 0                                      // 000000003450: 7F500280
	v_mov_b32_e32 v104, 0                                      // 000000003454: 7ED00280
	v_mov_b32_e32 v169, 0                                      // 000000003458: 7F520280
	v_mov_b32_e32 v105, 0                                      // 00000000345C: 7ED20280
	v_mov_b32_e32 v170, 0                                      // 000000003460: 7F540280
	v_mov_b32_e32 v106, 0                                      // 000000003464: 7ED40280
	v_mov_b32_e32 v171, 0                                      // 000000003468: 7F560280
	v_mov_b32_e32 v107, 0                                      // 00000000346C: 7ED60280
	v_mov_b32_e32 v172, 0                                      // 000000003470: 7F580280
	v_mov_b32_e32 v108, 0                                      // 000000003474: 7ED80280
	v_mov_b32_e32 v173, 0                                      // 000000003478: 7F5A0280
	v_mov_b32_e32 v109, 0                                      // 00000000347C: 7EDA0280
	v_mov_b32_e32 v174, 0                                      // 000000003480: 7F5C0280
	v_mov_b32_e32 v110, 0                                      // 000000003484: 7EDC0280
	v_mov_b32_e32 v175, 0                                      // 000000003488: 7F5E0280
	v_mov_b32_e32 v111, 0                                      // 00000000348C: 7EDE0280
	v_mov_b32_e32 v176, 0                                      // 000000003490: 7F600280
	v_mov_b32_e32 v112, 0                                      // 000000003494: 7EE00280
	v_mov_b32_e32 v177, 0                                      // 000000003498: 7F620280
	v_mov_b32_e32 v113, 0                                      // 00000000349C: 7EE20280
	v_mov_b32_e32 v178, 0                                      // 0000000034A0: 7F640280
	v_mov_b32_e32 v114, 0                                      // 0000000034A4: 7EE40280
	v_mov_b32_e32 v179, 0                                      // 0000000034A8: 7F660280
	v_mov_b32_e32 v115, 0                                      // 0000000034AC: 7EE60280
	v_mov_b32_e32 v180, 0                                      // 0000000034B0: 7F680280
	v_mov_b32_e32 v116, 0                                      // 0000000034B4: 7EE80280
	v_mov_b32_e32 v181, 0                                      // 0000000034B8: 7F6A0280
	v_mov_b32_e32 v117, 0                                      // 0000000034BC: 7EEA0280
	v_mov_b32_e32 v182, 0                                      // 0000000034C0: 7F6C0280
	v_mov_b32_e32 v118, 0                                      // 0000000034C4: 7EEC0280
	v_mov_b32_e32 v183, 0                                      // 0000000034C8: 7F6E0280
	v_mov_b32_e32 v119, 0                                      // 0000000034CC: 7EEE0280
	v_mov_b32_e32 v184, 0                                      // 0000000034D0: 7F700280
	v_mov_b32_e32 v120, 0                                      // 0000000034D4: 7EF00280
	v_mov_b32_e32 v185, 0                                      // 0000000034D8: 7F720280
	v_mov_b32_e32 v121, 0                                      // 0000000034DC: 7EF20280
	v_mov_b32_e32 v186, 0                                      // 0000000034E0: 7F740280
	v_mov_b32_e32 v122, 0                                      // 0000000034E4: 7EF40280
	v_mov_b32_e32 v187, 0                                      // 0000000034E8: 7F760280
	v_mov_b32_e32 v123, 0                                      // 0000000034EC: 7EF60280
	v_mov_b32_e32 v188, 0                                      // 0000000034F0: 7F780280
	v_mov_b32_e32 v124, 0                                      // 0000000034F4: 7EF80280
	v_mov_b32_e32 v189, 0                                      // 0000000034F8: 7F7A0280
	v_mov_b32_e32 v125, 0                                      // 0000000034FC: 7EFA0280
	v_mov_b32_e32 v190, 0                                      // 000000003500: 7F7C0280
	v_mov_b32_e32 v126, 0                                      // 000000003504: 7EFC0280
	v_mov_b32_e32 v191, 0                                      // 000000003508: 7F7E0280
	v_mov_b32_e32 v127, 0                                      // 00000000350C: 7EFE0280
	v_lshrrev_b32_e32 v52, 4, v0                               // 000000003510: 20680084
	v_mul_i32_i24_e32 v3, 34, v52                              // 000000003514: 0C0668A2
	v_and_b32_e32 v52, 15, v0                                  // 000000003518: 2668008F
	v_mul_i32_i24_e32 v53, 2, v52                              // 00000000351C: 0C6A6882
	v_add_u32_e32 v3, v53, v3                                  // 000000003520: 68060735
	s_mul_i32 s60, s7, 0x88                                    // 000000003524: 923CFF07 00000088
	v_add_u32_e32 v3, s60, v3                                  // 00000000352C: 6806063C
	v_lshlrev_b32_e32 v3, 2, v3                                // 000000003530: 24060682
	v_lshrrev_b32_e32 v52, 1, v0                               // 000000003534: 20680081
	v_mul_i32_i24_e32 v4, 34, v52                              // 000000003538: 0C0868A2
	v_and_b32_e32 v53, 1, v0                                   // 00000000353C: 266A0081
	v_add_u32_e32 v4, v53, v4                                  // 000000003540: 68080935
	s_mul_i32 s60, s7, 2                                       // 000000003544: 923C8207
	v_add_u32_e32 v4, s60, v4                                  // 000000003548: 6808083C
	v_lshlrev_b32_e32 v4, 2, v4                                // 00000000354C: 24080882
	s_waitcnt vmcnt(32)                                        // 000000003550: BF8C8F70
	s_barrier                                                  // 000000003554: BF8A0000
	ds_read_b128 v[192:195], v2                                // 000000003558: D9FE0000 C0000002
	ds_read_b128 v[196:199], v2 offset:64                      // 000000003560: D9FE0040 C4000002
	ds_read_b128 v[200:203], v2 offset:128                     // 000000003568: D9FE0080 C8000002
	ds_read_b128 v[204:207], v2 offset:192                     // 000000003570: D9FE00C0 CC000002
	ds_read_b128 v[208:211], v2 offset:1024                    // 000000003578: D9FE0400 D0000002
	ds_read_b128 v[212:215], v2 offset:1088                    // 000000003580: D9FE0440 D4000002
	ds_read_b128 v[216:219], v2 offset:1152                    // 000000003588: D9FE0480 D8000002
	ds_read_b128 v[220:223], v2 offset:1216                    // 000000003590: D9FE04C0 DC000002
	s_cmp_lt_i32 s7, 2                                         // 000000003598: BF048207
	s_cbranch_scc0 label_1461                                  // 00000000359C: BF8411B9

00000000000035a0 <label_02A8>:
	s_waitcnt vmcnt(24) lgkmcnt(0)                             // 0000000035A0: BF8C4078
	s_barrier                                                  // 0000000035A4: BF8A0000
	v_mfma_f32_16x16x32_fp8_fp8 v[128:131], a[0:1], v[192:193], v[128:131]// 0000000035A8: D3F30080 0E038100
	v_mfma_f32_16x16x32_fp8_fp8 v[128:131], a[2:3], v[194:195], v[128:131]// 0000000035B0: D3F30080 0E038502
	buffer_load_dwordx4 a[128:131], v34, s[92:95], 0 offen     // 0000000035B8: E05C1000 80978022
	v_mfma_f32_16x16x32_fp8_fp8 v[128:131], a[4:5], v[196:197], v[128:131]// 0000000035C0: D3F30080 0E038904
	v_mfma_f32_16x16x32_fp8_fp8 v[128:131], a[6:7], v[198:199], v[128:131]// 0000000035C8: D3F30080 0E038D06
	buffer_load_dword v26, s[20:23], 0 offen lds               // 0000000035D0: E0511000 8005001A
	s_add_u32 m0, 0x100, s51                                   // 0000000035D8: 807C33FF 00000100
	v_mfma_f32_16x16x32_fp8_fp8 v[128:131], a[8:9], v[200:201], v[128:131]// 0000000035E0: D3F30080 0E039108
	v_mfma_f32_16x16x32_fp8_fp8 v[128:131], a[10:11], v[202:203], v[128:131]// 0000000035E8: D3F30080 0E03950A
	buffer_load_dwordx4 a[132:135], v34, s[92:95], 0 offen offset:1024// 0000000035F0: E05C1400 80978422
	v_mfma_f32_16x16x32_fp8_fp8 v[128:131], a[12:13], v[204:205], v[128:131]// 0000000035F8: D3F30080 0E03990C
	v_mfma_f32_16x16x32_fp8_fp8 v[128:131], a[14:15], v[206:207], v[128:131]// 000000003600: D3F30080 0E039D0E
	buffer_load_dword v27, s[20:23], 0 offen lds               // 000000003608: E0511000 8005001B
	s_add_u32 m0, 0x200, s51                                   // 000000003610: 807C33FF 00000200
	v_mfma_f32_16x16x32_fp8_fp8 v[132:135], a[0:1], v[208:209], v[132:135]// 000000003618: D3F30084 0E13A100
	v_mfma_f32_16x16x32_fp8_fp8 v[132:135], a[2:3], v[210:211], v[132:135]// 000000003620: D3F30084 0E13A502
	buffer_load_dwordx4 a[136:139], v34, s[92:95], 0 offen offset:2048// 000000003628: E05C1800 80978822
	v_mfma_f32_16x16x32_fp8_fp8 v[132:135], a[4:5], v[212:213], v[132:135]// 000000003630: D3F30084 0E13A904
	v_mfma_f32_16x16x32_fp8_fp8 v[132:135], a[6:7], v[214:215], v[132:135]// 000000003638: D3F30084 0E13AD06
	buffer_load_dword v28, s[20:23], 0 offen lds               // 000000003640: E0511000 8005001C
	s_add_u32 m0, 0x300, s51                                   // 000000003648: 807C33FF 00000300
	v_mfma_f32_16x16x32_fp8_fp8 v[132:135], a[8:9], v[216:217], v[132:135]// 000000003650: D3F30084 0E13B108
	v_mfma_f32_16x16x32_fp8_fp8 v[132:135], a[10:11], v[218:219], v[132:135]// 000000003658: D3F30084 0E13B50A
	buffer_load_dwordx4 a[140:143], v34, s[92:95], 0 offen offset:3072// 000000003660: E05C1C00 80978C22
	v_mfma_f32_16x16x32_fp8_fp8 v[132:135], a[12:13], v[220:221], v[132:135]// 000000003668: D3F30084 0E13B90C
	v_mfma_f32_16x16x32_fp8_fp8 v[132:135], a[14:15], v[222:223], v[132:135]// 000000003670: D3F30084 0E13BD0E
	buffer_load_dword v29, s[20:23], 0 offen lds               // 000000003678: E0511000 8005001D
	s_add_u32 m0, 0x400, s51                                   // 000000003680: 807C33FF 00000400
	v_mfma_f32_16x16x32_fp8_fp8 v[136:139], a[16:17], v[192:193], v[136:139]// 000000003688: D3F30088 0E238110
	v_mfma_f32_16x16x32_fp8_fp8 v[136:139], a[18:19], v[194:195], v[136:139]// 000000003690: D3F30088 0E238512
	buffer_load_dwordx4 a[144:147], v35, s[92:95], 0 offen     // 000000003698: E05C1000 80979023
	v_mfma_f32_16x16x32_fp8_fp8 v[136:139], a[20:21], v[196:197], v[136:139]// 0000000036A0: D3F30088 0E238914
	v_mfma_f32_16x16x32_fp8_fp8 v[136:139], a[22:23], v[198:199], v[136:139]// 0000000036A8: D3F30088 0E238D16
	buffer_load_dword v30, s[20:23], 0 offen lds               // 0000000036B0: E0511000 8005001E
	s_add_u32 m0, 0x500, s51                                   // 0000000036B8: 807C33FF 00000500
	v_mfma_f32_16x16x32_fp8_fp8 v[136:139], a[24:25], v[200:201], v[136:139]// 0000000036C0: D3F30088 0E239118
	v_mfma_f32_16x16x32_fp8_fp8 v[136:139], a[26:27], v[202:203], v[136:139]// 0000000036C8: D3F30088 0E23951A
	buffer_load_dwordx4 a[148:151], v35, s[92:95], 0 offen offset:1024// 0000000036D0: E05C1400 80979423
	v_mfma_f32_16x16x32_fp8_fp8 v[136:139], a[28:29], v[204:205], v[136:139]// 0000000036D8: D3F30088 0E23991C
	v_mfma_f32_16x16x32_fp8_fp8 v[136:139], a[30:31], v[206:207], v[136:139]// 0000000036E0: D3F30088 0E239D1E
	buffer_load_dword v31, s[20:23], 0 offen lds               // 0000000036E8: E0511000 8005001F
	s_add_u32 m0, 0x600, s51                                   // 0000000036F0: 807C33FF 00000600
	v_mfma_f32_16x16x32_fp8_fp8 v[140:143], a[16:17], v[208:209], v[140:143]// 0000000036F8: D3F3008C 0E33A110
	v_mfma_f32_16x16x32_fp8_fp8 v[140:143], a[18:19], v[210:211], v[140:143]// 000000003700: D3F3008C 0E33A512
	buffer_load_dwordx4 a[152:155], v35, s[92:95], 0 offen offset:2048// 000000003708: E05C1800 80979823
	v_mfma_f32_16x16x32_fp8_fp8 v[140:143], a[20:21], v[212:213], v[140:143]// 000000003710: D3F3008C 0E33A914
	v_mfma_f32_16x16x32_fp8_fp8 v[140:143], a[22:23], v[214:215], v[140:143]// 000000003718: D3F3008C 0E33AD16
	buffer_load_dword v32, s[20:23], 0 offen lds               // 000000003720: E0511000 80050020
	s_add_u32 m0, 0x700, s51                                   // 000000003728: 807C33FF 00000700
	v_mfma_f32_16x16x32_fp8_fp8 v[140:143], a[24:25], v[216:217], v[140:143]// 000000003730: D3F3008C 0E33B118
	v_mfma_f32_16x16x32_fp8_fp8 v[140:143], a[26:27], v[218:219], v[140:143]// 000000003738: D3F3008C 0E33B51A
	buffer_load_dwordx4 a[156:159], v35, s[92:95], 0 offen offset:3072// 000000003740: E05C1C00 80979C23
	v_mfma_f32_16x16x32_fp8_fp8 v[140:143], a[28:29], v[220:221], v[140:143]// 000000003748: D3F3008C 0E33B91C
	v_mfma_f32_16x16x32_fp8_fp8 v[140:143], a[30:31], v[222:223], v[140:143]// 000000003750: D3F3008C 0E33BD1E
	buffer_load_dword v33, s[20:23], 0 offen lds               // 000000003758: E0511000 80050021
	s_add_u32 m0, 0, s50                                       // 000000003760: 807C3280
	s_waitcnt vmcnt(36)                                        // 000000003764: BF8C8F74
	v_mfma_f32_16x16x32_fp8_fp8 v[144:147], a[32:33], v[192:193], v[144:147]// 000000003768: D3F30090 0E438120
	v_mfma_f32_16x16x32_fp8_fp8 v[144:147], a[34:35], v[194:195], v[144:147]// 000000003770: D3F30090 0E438522
	buffer_load_dwordx4 a[160:163], v36, s[92:95], 0 offen     // 000000003778: E05C1000 8097A024
	v_mfma_f32_16x16x32_fp8_fp8 v[144:147], a[36:37], v[196:197], v[144:147]// 000000003780: D3F30090 0E438924
	v_mfma_f32_16x16x32_fp8_fp8 v[144:147], a[38:39], v[198:199], v[144:147]// 000000003788: D3F30090 0E438D26
	v_mfma_f32_16x16x32_fp8_fp8 v[144:147], a[40:41], v[200:201], v[144:147]// 000000003790: D3F30090 0E439128
	v_mfma_f32_16x16x32_fp8_fp8 v[144:147], a[42:43], v[202:203], v[144:147]// 000000003798: D3F30090 0E43952A
	buffer_load_dwordx4 a[164:167], v36, s[92:95], 0 offen offset:1024// 0000000037A0: E05C1400 8097A424
	v_mfma_f32_16x16x32_fp8_fp8 v[144:147], a[44:45], v[204:205], v[144:147]// 0000000037A8: D3F30090 0E43992C
	v_mfma_f32_16x16x32_fp8_fp8 v[144:147], a[46:47], v[206:207], v[144:147]// 0000000037B0: D3F30090 0E439D2E
	v_mfma_f32_16x16x32_fp8_fp8 v[148:151], a[32:33], v[208:209], v[148:151]// 0000000037B8: D3F30094 0E53A120
	v_mfma_f32_16x16x32_fp8_fp8 v[148:151], a[34:35], v[210:211], v[148:151]// 0000000037C0: D3F30094 0E53A522
	buffer_load_dwordx4 a[168:171], v36, s[92:95], 0 offen offset:2048// 0000000037C8: E05C1800 8097A824
	v_mfma_f32_16x16x32_fp8_fp8 v[148:151], a[36:37], v[212:213], v[148:151]// 0000000037D0: D3F30094 0E53A924
	v_mfma_f32_16x16x32_fp8_fp8 v[148:151], a[38:39], v[214:215], v[148:151]// 0000000037D8: D3F30094 0E53AD26
	v_mfma_f32_16x16x32_fp8_fp8 v[148:151], a[40:41], v[216:217], v[148:151]// 0000000037E0: D3F30094 0E53B128
	v_mfma_f32_16x16x32_fp8_fp8 v[148:151], a[42:43], v[218:219], v[148:151]// 0000000037E8: D3F30094 0E53B52A
	buffer_load_dwordx4 a[172:175], v36, s[92:95], 0 offen offset:3072// 0000000037F0: E05C1C00 8097AC24
	v_mfma_f32_16x16x32_fp8_fp8 v[148:151], a[44:45], v[220:221], v[148:151]// 0000000037F8: D3F30094 0E53B92C
	v_mfma_f32_16x16x32_fp8_fp8 v[148:151], a[46:47], v[222:223], v[148:151]// 000000003800: D3F30094 0E53BD2E
	s_waitcnt vmcnt(36)                                        // 000000003808: BF8C8F74
	v_mfma_f32_16x16x32_fp8_fp8 v[152:155], a[48:49], v[192:193], v[152:155]// 00000000380C: D3F30098 0E638130
	v_mfma_f32_16x16x32_fp8_fp8 v[152:155], a[50:51], v[194:195], v[152:155]// 000000003814: D3F30098 0E638532
	buffer_load_dwordx4 a[176:179], v37, s[92:95], 0 offen     // 00000000381C: E05C1000 8097B025
	v_mfma_f32_16x16x32_fp8_fp8 v[152:155], a[52:53], v[196:197], v[152:155]// 000000003824: D3F30098 0E638934
	v_mfma_f32_16x16x32_fp8_fp8 v[152:155], a[54:55], v[198:199], v[152:155]// 00000000382C: D3F30098 0E638D36
	v_mfma_f32_16x16x32_fp8_fp8 v[152:155], a[56:57], v[200:201], v[152:155]// 000000003834: D3F30098 0E639138
	v_mfma_f32_16x16x32_fp8_fp8 v[152:155], a[58:59], v[202:203], v[152:155]// 00000000383C: D3F30098 0E63953A
	buffer_load_dwordx4 a[180:183], v37, s[92:95], 0 offen offset:1024// 000000003844: E05C1400 8097B425
	v_mfma_f32_16x16x32_fp8_fp8 v[152:155], a[60:61], v[204:205], v[152:155]// 00000000384C: D3F30098 0E63993C
	v_mfma_f32_16x16x32_fp8_fp8 v[152:155], a[62:63], v[206:207], v[152:155]// 000000003854: D3F30098 0E639D3E
	v_mfma_f32_16x16x32_fp8_fp8 v[156:159], a[48:49], v[208:209], v[156:159]// 00000000385C: D3F3009C 0E73A130
	v_mfma_f32_16x16x32_fp8_fp8 v[156:159], a[50:51], v[210:211], v[156:159]// 000000003864: D3F3009C 0E73A532
	buffer_load_dwordx4 a[184:187], v37, s[92:95], 0 offen offset:2048// 00000000386C: E05C1800 8097B825
	v_mfma_f32_16x16x32_fp8_fp8 v[156:159], a[52:53], v[212:213], v[156:159]// 000000003874: D3F3009C 0E73A934
	v_mfma_f32_16x16x32_fp8_fp8 v[156:159], a[54:55], v[214:215], v[156:159]// 00000000387C: D3F3009C 0E73AD36
	v_mfma_f32_16x16x32_fp8_fp8 v[156:159], a[56:57], v[216:217], v[156:159]// 000000003884: D3F3009C 0E73B138
	v_mfma_f32_16x16x32_fp8_fp8 v[156:159], a[58:59], v[218:219], v[156:159]// 00000000388C: D3F3009C 0E73B53A
	buffer_load_dwordx4 a[188:191], v37, s[92:95], 0 offen offset:3072// 000000003894: E05C1C00 8097BC25
	v_mfma_f32_16x16x32_fp8_fp8 v[156:159], a[60:61], v[220:221], v[156:159]// 00000000389C: D3F3009C 0E73B93C
	v_mfma_f32_16x16x32_fp8_fp8 v[156:159], a[62:63], v[222:223], v[156:159]// 0000000038A4: D3F3009C 0E73BD3E
	s_waitcnt vmcnt(36)                                        // 0000000038AC: BF8C8F74
	v_mfma_f32_16x16x32_fp8_fp8 v[160:163], a[64:65], v[192:193], v[160:163]// 0000000038B0: D3F300A0 0E838140
	v_mfma_f32_16x16x32_fp8_fp8 v[160:163], a[66:67], v[194:195], v[160:163]// 0000000038B8: D3F300A0 0E838542
	buffer_load_dwordx4 a[192:195], v38, s[92:95], 0 offen     // 0000000038C0: E05C1000 8097C026
	v_mfma_f32_16x16x32_fp8_fp8 v[160:163], a[68:69], v[196:197], v[160:163]// 0000000038C8: D3F300A0 0E838944
	v_mfma_f32_16x16x32_fp8_fp8 v[160:163], a[70:71], v[198:199], v[160:163]// 0000000038D0: D3F300A0 0E838D46
	v_mfma_f32_16x16x32_fp8_fp8 v[160:163], a[72:73], v[200:201], v[160:163]// 0000000038D8: D3F300A0 0E839148
	v_mfma_f32_16x16x32_fp8_fp8 v[160:163], a[74:75], v[202:203], v[160:163]// 0000000038E0: D3F300A0 0E83954A
	buffer_load_dwordx4 a[196:199], v38, s[92:95], 0 offen offset:1024// 0000000038E8: E05C1400 8097C426
	v_mfma_f32_16x16x32_fp8_fp8 v[160:163], a[76:77], v[204:205], v[160:163]// 0000000038F0: D3F300A0 0E83994C
	v_mfma_f32_16x16x32_fp8_fp8 v[160:163], a[78:79], v[206:207], v[160:163]// 0000000038F8: D3F300A0 0E839D4E
	v_mfma_f32_16x16x32_fp8_fp8 v[164:167], a[64:65], v[208:209], v[164:167]// 000000003900: D3F300A4 0E93A140
	v_mfma_f32_16x16x32_fp8_fp8 v[164:167], a[66:67], v[210:211], v[164:167]// 000000003908: D3F300A4 0E93A542
	buffer_load_dwordx4 a[200:203], v38, s[92:95], 0 offen offset:2048// 000000003910: E05C1800 8097C826
	v_mfma_f32_16x16x32_fp8_fp8 v[164:167], a[68:69], v[212:213], v[164:167]// 000000003918: D3F300A4 0E93A944
	v_mfma_f32_16x16x32_fp8_fp8 v[164:167], a[70:71], v[214:215], v[164:167]// 000000003920: D3F300A4 0E93AD46
	v_mfma_f32_16x16x32_fp8_fp8 v[164:167], a[72:73], v[216:217], v[164:167]// 000000003928: D3F300A4 0E93B148
	v_mfma_f32_16x16x32_fp8_fp8 v[164:167], a[74:75], v[218:219], v[164:167]// 000000003930: D3F300A4 0E93B54A
	buffer_load_dwordx4 a[204:207], v38, s[92:95], 0 offen offset:3072// 000000003938: E05C1C00 8097CC26
	v_mfma_f32_16x16x32_fp8_fp8 v[164:167], a[76:77], v[220:221], v[164:167]// 000000003940: D3F300A4 0E93B94C
	v_mfma_f32_16x16x32_fp8_fp8 v[164:167], a[78:79], v[222:223], v[164:167]// 000000003948: D3F300A4 0E93BD4E
	s_waitcnt vmcnt(36)                                        // 000000003950: BF8C8F74
	v_mfma_f32_16x16x32_fp8_fp8 v[168:171], a[80:81], v[192:193], v[168:171]// 000000003954: D3F300A8 0EA38150
	v_mfma_f32_16x16x32_fp8_fp8 v[168:171], a[82:83], v[194:195], v[168:171]// 00000000395C: D3F300A8 0EA38552
	buffer_load_dwordx4 a[208:211], v39, s[92:95], 0 offen     // 000000003964: E05C1000 8097D027
	v_mfma_f32_16x16x32_fp8_fp8 v[168:171], a[84:85], v[196:197], v[168:171]// 00000000396C: D3F300A8 0EA38954
	v_mfma_f32_16x16x32_fp8_fp8 v[168:171], a[86:87], v[198:199], v[168:171]// 000000003974: D3F300A8 0EA38D56
	v_mfma_f32_16x16x32_fp8_fp8 v[168:171], a[88:89], v[200:201], v[168:171]// 00000000397C: D3F300A8 0EA39158
	v_mfma_f32_16x16x32_fp8_fp8 v[168:171], a[90:91], v[202:203], v[168:171]// 000000003984: D3F300A8 0EA3955A
	buffer_load_dwordx4 a[212:215], v39, s[92:95], 0 offen offset:1024// 00000000398C: E05C1400 8097D427
	v_mfma_f32_16x16x32_fp8_fp8 v[168:171], a[92:93], v[204:205], v[168:171]// 000000003994: D3F300A8 0EA3995C
	v_mfma_f32_16x16x32_fp8_fp8 v[168:171], a[94:95], v[206:207], v[168:171]// 00000000399C: D3F300A8 0EA39D5E
	v_mfma_f32_16x16x32_fp8_fp8 v[172:175], a[80:81], v[208:209], v[172:175]// 0000000039A4: D3F300AC 0EB3A150
	v_mfma_f32_16x16x32_fp8_fp8 v[172:175], a[82:83], v[210:211], v[172:175]// 0000000039AC: D3F300AC 0EB3A552
	buffer_load_dwordx4 a[216:219], v39, s[92:95], 0 offen offset:2048// 0000000039B4: E05C1800 8097D827
	v_mfma_f32_16x16x32_fp8_fp8 v[172:175], a[84:85], v[212:213], v[172:175]// 0000000039BC: D3F300AC 0EB3A954
	v_mfma_f32_16x16x32_fp8_fp8 v[172:175], a[86:87], v[214:215], v[172:175]// 0000000039C4: D3F300AC 0EB3AD56
	v_mfma_f32_16x16x32_fp8_fp8 v[172:175], a[88:89], v[216:217], v[172:175]// 0000000039CC: D3F300AC 0EB3B158
	v_mfma_f32_16x16x32_fp8_fp8 v[172:175], a[90:91], v[218:219], v[172:175]// 0000000039D4: D3F300AC 0EB3B55A
	buffer_load_dwordx4 a[220:223], v39, s[92:95], 0 offen offset:3072// 0000000039DC: E05C1C00 8097DC27
	v_mfma_f32_16x16x32_fp8_fp8 v[172:175], a[92:93], v[220:221], v[172:175]// 0000000039E4: D3F300AC 0EB3B95C
	v_mfma_f32_16x16x32_fp8_fp8 v[172:175], a[94:95], v[222:223], v[172:175]// 0000000039EC: D3F300AC 0EB3BD5E
	s_waitcnt vmcnt(36)                                        // 0000000039F4: BF8C8F74
	v_mfma_f32_16x16x32_fp8_fp8 v[176:179], a[96:97], v[192:193], v[176:179]// 0000000039F8: D3F300B0 0EC38160
	v_mfma_f32_16x16x32_fp8_fp8 v[176:179], a[98:99], v[194:195], v[176:179]// 000000003A00: D3F300B0 0EC38562
	buffer_load_dwordx4 a[224:227], v40, s[92:95], 0 offen     // 000000003A08: E05C1000 8097E028
	v_mfma_f32_16x16x32_fp8_fp8 v[176:179], a[100:101], v[196:197], v[176:179]// 000000003A10: D3F300B0 0EC38964
	v_mfma_f32_16x16x32_fp8_fp8 v[176:179], a[102:103], v[198:199], v[176:179]// 000000003A18: D3F300B0 0EC38D66
	v_mfma_f32_16x16x32_fp8_fp8 v[176:179], a[104:105], v[200:201], v[176:179]// 000000003A20: D3F300B0 0EC39168
	v_mfma_f32_16x16x32_fp8_fp8 v[176:179], a[106:107], v[202:203], v[176:179]// 000000003A28: D3F300B0 0EC3956A
	buffer_load_dwordx4 a[228:231], v40, s[92:95], 0 offen offset:1024// 000000003A30: E05C1400 8097E428
	v_mfma_f32_16x16x32_fp8_fp8 v[176:179], a[108:109], v[204:205], v[176:179]// 000000003A38: D3F300B0 0EC3996C
	v_mfma_f32_16x16x32_fp8_fp8 v[176:179], a[110:111], v[206:207], v[176:179]// 000000003A40: D3F300B0 0EC39D6E
	v_mfma_f32_16x16x32_fp8_fp8 v[180:183], a[96:97], v[208:209], v[180:183]// 000000003A48: D3F300B4 0ED3A160
	v_mfma_f32_16x16x32_fp8_fp8 v[180:183], a[98:99], v[210:211], v[180:183]// 000000003A50: D3F300B4 0ED3A562
	buffer_load_dwordx4 a[232:235], v40, s[92:95], 0 offen offset:2048// 000000003A58: E05C1800 8097E828
	v_mfma_f32_16x16x32_fp8_fp8 v[180:183], a[100:101], v[212:213], v[180:183]// 000000003A60: D3F300B4 0ED3A964
	v_mfma_f32_16x16x32_fp8_fp8 v[180:183], a[102:103], v[214:215], v[180:183]// 000000003A68: D3F300B4 0ED3AD66
	v_mfma_f32_16x16x32_fp8_fp8 v[180:183], a[104:105], v[216:217], v[180:183]// 000000003A70: D3F300B4 0ED3B168
	v_mfma_f32_16x16x32_fp8_fp8 v[180:183], a[106:107], v[218:219], v[180:183]// 000000003A78: D3F300B4 0ED3B56A
	buffer_load_dwordx4 a[236:239], v40, s[92:95], 0 offen offset:3072// 000000003A80: E05C1C00 8097EC28
	v_mfma_f32_16x16x32_fp8_fp8 v[180:183], a[108:109], v[220:221], v[180:183]// 000000003A88: D3F300B4 0ED3B96C
	v_mfma_f32_16x16x32_fp8_fp8 v[180:183], a[110:111], v[222:223], v[180:183]// 000000003A90: D3F300B4 0ED3BD6E
	s_waitcnt vmcnt(36)                                        // 000000003A98: BF8C8F74
	v_mfma_f32_16x16x32_fp8_fp8 v[184:187], a[112:113], v[192:193], v[184:187]// 000000003A9C: D3F300B8 0EE38170
	v_mfma_f32_16x16x32_fp8_fp8 v[184:187], a[114:115], v[194:195], v[184:187]// 000000003AA4: D3F300B8 0EE38572
	buffer_load_dwordx4 a[240:243], v41, s[92:95], 0 offen     // 000000003AAC: E05C1000 8097F029
	v_mfma_f32_16x16x32_fp8_fp8 v[184:187], a[116:117], v[196:197], v[184:187]// 000000003AB4: D3F300B8 0EE38974
	v_mfma_f32_16x16x32_fp8_fp8 v[184:187], a[118:119], v[198:199], v[184:187]// 000000003ABC: D3F300B8 0EE38D76
	v_mfma_f32_16x16x32_fp8_fp8 v[184:187], a[120:121], v[200:201], v[184:187]// 000000003AC4: D3F300B8 0EE39178
	v_mfma_f32_16x16x32_fp8_fp8 v[184:187], a[122:123], v[202:203], v[184:187]// 000000003ACC: D3F300B8 0EE3957A
	buffer_load_dwordx4 a[244:247], v41, s[92:95], 0 offen offset:1024// 000000003AD4: E05C1400 8097F429
	v_mfma_f32_16x16x32_fp8_fp8 v[184:187], a[124:125], v[204:205], v[184:187]// 000000003ADC: D3F300B8 0EE3997C
	v_mfma_f32_16x16x32_fp8_fp8 v[184:187], a[126:127], v[206:207], v[184:187]// 000000003AE4: D3F300B8 0EE39D7E
	v_mfma_f32_16x16x32_fp8_fp8 v[188:191], a[112:113], v[208:209], v[188:191]// 000000003AEC: D3F300BC 0EF3A170
	v_mfma_f32_16x16x32_fp8_fp8 v[188:191], a[114:115], v[210:211], v[188:191]// 000000003AF4: D3F300BC 0EF3A572
	buffer_load_dwordx4 a[248:251], v41, s[92:95], 0 offen offset:2048// 000000003AFC: E05C1800 8097F829
	v_mfma_f32_16x16x32_fp8_fp8 v[188:191], a[116:117], v[212:213], v[188:191]// 000000003B04: D3F300BC 0EF3A974
	v_mfma_f32_16x16x32_fp8_fp8 v[188:191], a[118:119], v[214:215], v[188:191]// 000000003B0C: D3F300BC 0EF3AD76
	v_mfma_f32_16x16x32_fp8_fp8 v[188:191], a[120:121], v[216:217], v[188:191]// 000000003B14: D3F300BC 0EF3B178
	v_mfma_f32_16x16x32_fp8_fp8 v[188:191], a[122:123], v[218:219], v[188:191]// 000000003B1C: D3F300BC 0EF3B57A
	buffer_load_dwordx4 a[252:255], v41, s[92:95], 0 offen offset:3072// 000000003B24: E05C1C00 8097FC29
	v_mfma_f32_16x16x32_fp8_fp8 v[188:191], a[124:125], v[220:221], v[188:191]// 000000003B2C: D3F300BC 0EF3B97C
	v_mfma_f32_16x16x32_fp8_fp8 v[188:191], a[126:127], v[222:223], v[188:191]// 000000003B34: D3F300BC 0EF3BD7E
	s_waitcnt vmcnt(24)                                        // 000000003B3C: BF8C4F78
	s_barrier                                                  // 000000003B40: BF8A0000
	v_mfma_f32_16x16x32_fp8_fp8 v[64:67], a[128:129], v[192:193], v[64:67]// 000000003B44: D3F30040 0D038180
	v_mfma_f32_16x16x32_fp8_fp8 v[64:67], a[130:131], v[194:195], v[64:67]// 000000003B4C: D3F30040 0D038582
	buffer_load_dwordx4 a[0:3], v34, s[24:27], 0 offen         // 000000003B54: E05C1000 80860022
	v_mfma_f32_16x16x32_fp8_fp8 v[64:67], a[132:133], v[196:197], v[64:67]// 000000003B5C: D3F30040 0D038984
	v_mfma_f32_16x16x32_fp8_fp8 v[64:67], a[134:135], v[198:199], v[64:67]// 000000003B64: D3F30040 0D038D86
	v_mfma_f32_16x16x32_fp8_fp8 v[64:67], a[136:137], v[200:201], v[64:67]// 000000003B6C: D3F30040 0D039188
	v_mfma_f32_16x16x32_fp8_fp8 v[64:67], a[138:139], v[202:203], v[64:67]// 000000003B74: D3F30040 0D03958A
	buffer_load_dwordx4 a[4:7], v34, s[24:27], 0 offen offset:1024// 000000003B7C: E05C1400 80860422
	v_mfma_f32_16x16x32_fp8_fp8 v[64:67], a[140:141], v[204:205], v[64:67]// 000000003B84: D3F30040 0D03998C
	v_mfma_f32_16x16x32_fp8_fp8 v[64:67], a[142:143], v[206:207], v[64:67]// 000000003B8C: D3F30040 0D039D8E
	v_mfma_f32_16x16x32_fp8_fp8 v[68:71], a[128:129], v[208:209], v[68:71]// 000000003B94: D3F30044 0D13A180
	v_mfma_f32_16x16x32_fp8_fp8 v[68:71], a[130:131], v[210:211], v[68:71]// 000000003B9C: D3F30044 0D13A582
	buffer_load_dwordx4 a[8:11], v34, s[24:27], 0 offen offset:2048// 000000003BA4: E05C1800 80860822
	v_mfma_f32_16x16x32_fp8_fp8 v[68:71], a[132:133], v[212:213], v[68:71]// 000000003BAC: D3F30044 0D13A984
	v_mfma_f32_16x16x32_fp8_fp8 v[68:71], a[134:135], v[214:215], v[68:71]// 000000003BB4: D3F30044 0D13AD86
	v_mfma_f32_16x16x32_fp8_fp8 v[68:71], a[136:137], v[216:217], v[68:71]// 000000003BBC: D3F30044 0D13B188
	v_mfma_f32_16x16x32_fp8_fp8 v[68:71], a[138:139], v[218:219], v[68:71]// 000000003BC4: D3F30044 0D13B58A
	buffer_load_dwordx4 a[12:15], v34, s[24:27], 0 offen offset:3072// 000000003BCC: E05C1C00 80860C22
	v_mfma_f32_16x16x32_fp8_fp8 v[68:71], a[140:141], v[220:221], v[68:71]// 000000003BD4: D3F30044 0D13B98C
	v_mfma_f32_16x16x32_fp8_fp8 v[68:71], a[142:143], v[222:223], v[68:71]// 000000003BDC: D3F30044 0D13BD8E
	v_mfma_f32_16x16x32_fp8_fp8 v[72:75], a[144:145], v[192:193], v[72:75]// 000000003BE4: D3F30048 0D238190
	v_mfma_f32_16x16x32_fp8_fp8 v[72:75], a[146:147], v[194:195], v[72:75]// 000000003BEC: D3F30048 0D238592
	buffer_load_dwordx4 a[16:19], v35, s[24:27], 0 offen       // 000000003BF4: E05C1000 80861023
	v_mfma_f32_16x16x32_fp8_fp8 v[72:75], a[148:149], v[196:197], v[72:75]// 000000003BFC: D3F30048 0D238994
	v_mfma_f32_16x16x32_fp8_fp8 v[72:75], a[150:151], v[198:199], v[72:75]// 000000003C04: D3F30048 0D238D96
	v_mfma_f32_16x16x32_fp8_fp8 v[72:75], a[152:153], v[200:201], v[72:75]// 000000003C0C: D3F30048 0D239198
	v_mfma_f32_16x16x32_fp8_fp8 v[72:75], a[154:155], v[202:203], v[72:75]// 000000003C14: D3F30048 0D23959A
	buffer_load_dwordx4 a[20:23], v35, s[24:27], 0 offen offset:1024// 000000003C1C: E05C1400 80861423
	v_mfma_f32_16x16x32_fp8_fp8 v[72:75], a[156:157], v[204:205], v[72:75]// 000000003C24: D3F30048 0D23999C
	v_mfma_f32_16x16x32_fp8_fp8 v[72:75], a[158:159], v[206:207], v[72:75]// 000000003C2C: D3F30048 0D239D9E
	v_mfma_f32_16x16x32_fp8_fp8 v[76:79], a[144:145], v[208:209], v[76:79]// 000000003C34: D3F3004C 0D33A190
	v_mfma_f32_16x16x32_fp8_fp8 v[76:79], a[146:147], v[210:211], v[76:79]// 000000003C3C: D3F3004C 0D33A592
	buffer_load_dwordx4 a[24:27], v35, s[24:27], 0 offen offset:2048// 000000003C44: E05C1800 80861823
	v_mfma_f32_16x16x32_fp8_fp8 v[76:79], a[148:149], v[212:213], v[76:79]// 000000003C4C: D3F3004C 0D33A994
	v_mfma_f32_16x16x32_fp8_fp8 v[76:79], a[150:151], v[214:215], v[76:79]// 000000003C54: D3F3004C 0D33AD96
	v_mfma_f32_16x16x32_fp8_fp8 v[76:79], a[152:153], v[216:217], v[76:79]// 000000003C5C: D3F3004C 0D33B198
	v_mfma_f32_16x16x32_fp8_fp8 v[76:79], a[154:155], v[218:219], v[76:79]// 000000003C64: D3F3004C 0D33B59A
	buffer_load_dwordx4 a[28:31], v35, s[24:27], 0 offen offset:3072// 000000003C6C: E05C1C00 80861C23
	v_mfma_f32_16x16x32_fp8_fp8 v[76:79], a[156:157], v[220:221], v[76:79]// 000000003C74: D3F3004C 0D33B99C
	v_mfma_f32_16x16x32_fp8_fp8 v[76:79], a[158:159], v[222:223], v[76:79]// 000000003C7C: D3F3004C 0D33BD9E
	s_waitcnt vmcnt(28)                                        // 000000003C84: BF8C4F7C
	v_mfma_f32_16x16x32_fp8_fp8 v[80:83], a[160:161], v[192:193], v[80:83]// 000000003C88: D3F30050 0D4381A0
	v_mfma_f32_16x16x32_fp8_fp8 v[80:83], a[162:163], v[194:195], v[80:83]// 000000003C90: D3F30050 0D4385A2
	buffer_load_dwordx4 a[32:35], v36, s[24:27], 0 offen       // 000000003C98: E05C1000 80862024
	v_mfma_f32_16x16x32_fp8_fp8 v[80:83], a[164:165], v[196:197], v[80:83]// 000000003CA0: D3F30050 0D4389A4
	v_mfma_f32_16x16x32_fp8_fp8 v[80:83], a[166:167], v[198:199], v[80:83]// 000000003CA8: D3F30050 0D438DA6
	ds_read_b128 v[224:227], v2 offset:8320                    // 000000003CB0: D9FE2080 E0000002
	v_mfma_f32_16x16x32_fp8_fp8 v[80:83], a[168:169], v[200:201], v[80:83]// 000000003CB8: D3F30050 0D4391A8
	v_mfma_f32_16x16x32_fp8_fp8 v[80:83], a[170:171], v[202:203], v[80:83]// 000000003CC0: D3F30050 0D4395AA
	buffer_load_dwordx4 a[36:39], v36, s[24:27], 0 offen offset:1024// 000000003CC8: E05C1400 80862424
	v_mfma_f32_16x16x32_fp8_fp8 v[80:83], a[172:173], v[204:205], v[80:83]// 000000003CD0: D3F30050 0D4399AC
	v_mfma_f32_16x16x32_fp8_fp8 v[80:83], a[174:175], v[206:207], v[80:83]// 000000003CD8: D3F30050 0D439DAE
	ds_read_b128 v[228:231], v2 offset:8384                    // 000000003CE0: D9FE20C0 E4000002
	v_mfma_f32_16x16x32_fp8_fp8 v[84:87], a[160:161], v[208:209], v[84:87]// 000000003CE8: D3F30054 0D53A1A0
	v_mfma_f32_16x16x32_fp8_fp8 v[84:87], a[162:163], v[210:211], v[84:87]// 000000003CF0: D3F30054 0D53A5A2
	buffer_load_dwordx4 a[40:43], v36, s[24:27], 0 offen offset:2048// 000000003CF8: E05C1800 80862824
	v_mfma_f32_16x16x32_fp8_fp8 v[84:87], a[164:165], v[212:213], v[84:87]// 000000003D00: D3F30054 0D53A9A4
	v_mfma_f32_16x16x32_fp8_fp8 v[84:87], a[166:167], v[214:215], v[84:87]// 000000003D08: D3F30054 0D53ADA6
	ds_read_b128 v[232:235], v2 offset:8448                    // 000000003D10: D9FE2100 E8000002
	v_mfma_f32_16x16x32_fp8_fp8 v[84:87], a[168:169], v[216:217], v[84:87]// 000000003D18: D3F30054 0D53B1A8
	v_mfma_f32_16x16x32_fp8_fp8 v[84:87], a[170:171], v[218:219], v[84:87]// 000000003D20: D3F30054 0D53B5AA
	buffer_load_dwordx4 a[44:47], v36, s[24:27], 0 offen offset:3072// 000000003D28: E05C1C00 80862C24
	v_mfma_f32_16x16x32_fp8_fp8 v[84:87], a[172:173], v[220:221], v[84:87]// 000000003D30: D3F30054 0D53B9AC
	v_mfma_f32_16x16x32_fp8_fp8 v[84:87], a[174:175], v[222:223], v[84:87]// 000000003D38: D3F30054 0D53BDAE
	ds_read_b128 v[236:239], v2 offset:8512                    // 000000003D40: D9FE2140 EC000002
	s_waitcnt vmcnt(28)                                        // 000000003D48: BF8C4F7C
	v_mfma_f32_16x16x32_fp8_fp8 v[88:91], a[176:177], v[192:193], v[88:91]// 000000003D4C: D3F30058 0D6381B0
	v_mfma_f32_16x16x32_fp8_fp8 v[88:91], a[178:179], v[194:195], v[88:91]// 000000003D54: D3F30058 0D6385B2
	buffer_load_dwordx4 a[48:51], v37, s[24:27], 0 offen       // 000000003D5C: E05C1000 80863025
	v_mfma_f32_16x16x32_fp8_fp8 v[88:91], a[180:181], v[196:197], v[88:91]// 000000003D64: D3F30058 0D6389B4
	v_mfma_f32_16x16x32_fp8_fp8 v[88:91], a[182:183], v[198:199], v[88:91]// 000000003D6C: D3F30058 0D638DB6
	ds_read_b128 v[240:243], v2 offset:9344                    // 000000003D74: D9FE2480 F0000002
	v_mfma_f32_16x16x32_fp8_fp8 v[88:91], a[184:185], v[200:201], v[88:91]// 000000003D7C: D3F30058 0D6391B8
	v_mfma_f32_16x16x32_fp8_fp8 v[88:91], a[186:187], v[202:203], v[88:91]// 000000003D84: D3F30058 0D6395BA
	buffer_load_dwordx4 a[52:55], v37, s[24:27], 0 offen offset:1024// 000000003D8C: E05C1400 80863425
	v_mfma_f32_16x16x32_fp8_fp8 v[88:91], a[188:189], v[204:205], v[88:91]// 000000003D94: D3F30058 0D6399BC
	v_mfma_f32_16x16x32_fp8_fp8 v[88:91], a[190:191], v[206:207], v[88:91]// 000000003D9C: D3F30058 0D639DBE
	ds_read_b128 v[244:247], v2 offset:9408                    // 000000003DA4: D9FE24C0 F4000002
	v_mfma_f32_16x16x32_fp8_fp8 v[92:95], a[176:177], v[208:209], v[92:95]// 000000003DAC: D3F3005C 0D73A1B0
	v_mfma_f32_16x16x32_fp8_fp8 v[92:95], a[178:179], v[210:211], v[92:95]// 000000003DB4: D3F3005C 0D73A5B2
	buffer_load_dwordx4 a[56:59], v37, s[24:27], 0 offen offset:2048// 000000003DBC: E05C1800 80863825
	v_mfma_f32_16x16x32_fp8_fp8 v[92:95], a[180:181], v[212:213], v[92:95]// 000000003DC4: D3F3005C 0D73A9B4
	v_mfma_f32_16x16x32_fp8_fp8 v[92:95], a[182:183], v[214:215], v[92:95]// 000000003DCC: D3F3005C 0D73ADB6
	ds_read_b128 v[248:251], v2 offset:9472                    // 000000003DD4: D9FE2500 F8000002
	v_mfma_f32_16x16x32_fp8_fp8 v[92:95], a[184:185], v[216:217], v[92:95]// 000000003DDC: D3F3005C 0D73B1B8
	v_mfma_f32_16x16x32_fp8_fp8 v[92:95], a[186:187], v[218:219], v[92:95]// 000000003DE4: D3F3005C 0D73B5BA
	buffer_load_dwordx4 a[60:63], v37, s[24:27], 0 offen offset:3072// 000000003DEC: E05C1C00 80863C25
	v_mfma_f32_16x16x32_fp8_fp8 v[92:95], a[188:189], v[220:221], v[92:95]// 000000003DF4: D3F3005C 0D73B9BC
	v_mfma_f32_16x16x32_fp8_fp8 v[92:95], a[190:191], v[222:223], v[92:95]// 000000003DFC: D3F3005C 0D73BDBE
	ds_read_b128 v[252:255], v2 offset:9536                    // 000000003E04: D9FE2540 FC000002
	s_waitcnt vmcnt(28)                                        // 000000003E0C: BF8C4F7C
	v_mfma_f32_16x16x32_fp8_fp8 v[96:99], a[192:193], v[192:193], v[96:99]// 000000003E10: D3F30060 0D8381C0
	v_mfma_f32_16x16x32_fp8_fp8 v[96:99], a[194:195], v[194:195], v[96:99]// 000000003E18: D3F30060 0D8385C2
	buffer_load_dwordx4 a[64:67], v38, s[24:27], 0 offen       // 000000003E20: E05C1000 80864026
	v_mfma_f32_16x16x32_fp8_fp8 v[96:99], a[196:197], v[196:197], v[96:99]// 000000003E28: D3F30060 0D8389C4
	v_mfma_f32_16x16x32_fp8_fp8 v[96:99], a[198:199], v[198:199], v[96:99]// 000000003E30: D3F30060 0D838DC6
	v_mfma_f32_16x16x32_fp8_fp8 v[96:99], a[200:201], v[200:201], v[96:99]// 000000003E38: D3F30060 0D8391C8
	v_mfma_f32_16x16x32_fp8_fp8 v[96:99], a[202:203], v[202:203], v[96:99]// 000000003E40: D3F30060 0D8395CA
	buffer_load_dwordx4 a[68:71], v38, s[24:27], 0 offen offset:1024// 000000003E48: E05C1400 80864426
	v_mfma_f32_16x16x32_fp8_fp8 v[96:99], a[204:205], v[204:205], v[96:99]// 000000003E50: D3F30060 0D8399CC
	v_mfma_f32_16x16x32_fp8_fp8 v[96:99], a[206:207], v[206:207], v[96:99]// 000000003E58: D3F30060 0D839DCE
	v_mfma_f32_16x16x32_fp8_fp8 v[100:103], a[192:193], v[208:209], v[100:103]// 000000003E60: D3F30064 0D93A1C0
	v_mfma_f32_16x16x32_fp8_fp8 v[100:103], a[194:195], v[210:211], v[100:103]// 000000003E68: D3F30064 0D93A5C2
	buffer_load_dwordx4 a[72:75], v38, s[24:27], 0 offen offset:2048// 000000003E70: E05C1800 80864826
	v_mfma_f32_16x16x32_fp8_fp8 v[100:103], a[196:197], v[212:213], v[100:103]// 000000003E78: D3F30064 0D93A9C4
	v_mfma_f32_16x16x32_fp8_fp8 v[100:103], a[198:199], v[214:215], v[100:103]// 000000003E80: D3F30064 0D93ADC6
	v_mfma_f32_16x16x32_fp8_fp8 v[100:103], a[200:201], v[216:217], v[100:103]// 000000003E88: D3F30064 0D93B1C8
	v_mfma_f32_16x16x32_fp8_fp8 v[100:103], a[202:203], v[218:219], v[100:103]// 000000003E90: D3F30064 0D93B5CA
	buffer_load_dwordx4 a[76:79], v38, s[24:27], 0 offen offset:3072// 000000003E98: E05C1C00 80864C26
	v_mfma_f32_16x16x32_fp8_fp8 v[100:103], a[204:205], v[220:221], v[100:103]// 000000003EA0: D3F30064 0D93B9CC
	v_mfma_f32_16x16x32_fp8_fp8 v[100:103], a[206:207], v[222:223], v[100:103]// 000000003EA8: D3F30064 0D93BDCE
	s_waitcnt vmcnt(28)                                        // 000000003EB0: BF8C4F7C
	v_mfma_f32_16x16x32_fp8_fp8 v[104:107], a[208:209], v[192:193], v[104:107]// 000000003EB4: D3F30068 0DA381D0
	v_mfma_f32_16x16x32_fp8_fp8 v[104:107], a[210:211], v[194:195], v[104:107]// 000000003EBC: D3F30068 0DA385D2
	buffer_load_dwordx4 a[80:83], v39, s[24:27], 0 offen       // 000000003EC4: E05C1000 80865027
	v_mfma_f32_16x16x32_fp8_fp8 v[104:107], a[212:213], v[196:197], v[104:107]// 000000003ECC: D3F30068 0DA389D4
	v_mfma_f32_16x16x32_fp8_fp8 v[104:107], a[214:215], v[198:199], v[104:107]// 000000003ED4: D3F30068 0DA38DD6
	v_mfma_f32_16x16x32_fp8_fp8 v[104:107], a[216:217], v[200:201], v[104:107]// 000000003EDC: D3F30068 0DA391D8
	v_mfma_f32_16x16x32_fp8_fp8 v[104:107], a[218:219], v[202:203], v[104:107]// 000000003EE4: D3F30068 0DA395DA
	buffer_load_dwordx4 a[84:87], v39, s[24:27], 0 offen offset:1024// 000000003EEC: E05C1400 80865427
	v_mfma_f32_16x16x32_fp8_fp8 v[104:107], a[220:221], v[204:205], v[104:107]// 000000003EF4: D3F30068 0DA399DC
	v_mfma_f32_16x16x32_fp8_fp8 v[104:107], a[222:223], v[206:207], v[104:107]// 000000003EFC: D3F30068 0DA39DDE
	v_mfma_f32_16x16x32_fp8_fp8 v[108:111], a[208:209], v[208:209], v[108:111]// 000000003F04: D3F3006C 0DB3A1D0
	v_mfma_f32_16x16x32_fp8_fp8 v[108:111], a[210:211], v[210:211], v[108:111]// 000000003F0C: D3F3006C 0DB3A5D2
	buffer_load_dwordx4 a[88:91], v39, s[24:27], 0 offen offset:2048// 000000003F14: E05C1800 80865827
	v_mfma_f32_16x16x32_fp8_fp8 v[108:111], a[212:213], v[212:213], v[108:111]// 000000003F1C: D3F3006C 0DB3A9D4
	v_mfma_f32_16x16x32_fp8_fp8 v[108:111], a[214:215], v[214:215], v[108:111]// 000000003F24: D3F3006C 0DB3ADD6
	v_mfma_f32_16x16x32_fp8_fp8 v[108:111], a[216:217], v[216:217], v[108:111]// 000000003F2C: D3F3006C 0DB3B1D8
	v_mfma_f32_16x16x32_fp8_fp8 v[108:111], a[218:219], v[218:219], v[108:111]// 000000003F34: D3F3006C 0DB3B5DA
	buffer_load_dwordx4 a[92:95], v39, s[24:27], 0 offen offset:3072// 000000003F3C: E05C1C00 80865C27
	v_mfma_f32_16x16x32_fp8_fp8 v[108:111], a[220:221], v[220:221], v[108:111]// 000000003F44: D3F3006C 0DB3B9DC
	v_mfma_f32_16x16x32_fp8_fp8 v[108:111], a[222:223], v[222:223], v[108:111]// 000000003F4C: D3F3006C 0DB3BDDE
	s_waitcnt vmcnt(28)                                        // 000000003F54: BF8C4F7C
	v_mfma_f32_16x16x32_fp8_fp8 v[112:115], a[224:225], v[192:193], v[112:115]// 000000003F58: D3F30070 0DC381E0
	v_mfma_f32_16x16x32_fp8_fp8 v[112:115], a[226:227], v[194:195], v[112:115]// 000000003F60: D3F30070 0DC385E2
	buffer_load_dwordx4 a[96:99], v40, s[24:27], 0 offen       // 000000003F68: E05C1000 80866028
	v_mfma_f32_16x16x32_fp8_fp8 v[112:115], a[228:229], v[196:197], v[112:115]// 000000003F70: D3F30070 0DC389E4
	v_mfma_f32_16x16x32_fp8_fp8 v[112:115], a[230:231], v[198:199], v[112:115]// 000000003F78: D3F30070 0DC38DE6
	v_mfma_f32_16x16x32_fp8_fp8 v[112:115], a[232:233], v[200:201], v[112:115]// 000000003F80: D3F30070 0DC391E8
	v_mfma_f32_16x16x32_fp8_fp8 v[112:115], a[234:235], v[202:203], v[112:115]// 000000003F88: D3F30070 0DC395EA
	buffer_load_dwordx4 a[100:103], v40, s[24:27], 0 offen offset:1024// 000000003F90: E05C1400 80866428
	v_mfma_f32_16x16x32_fp8_fp8 v[112:115], a[236:237], v[204:205], v[112:115]// 000000003F98: D3F30070 0DC399EC
	v_mfma_f32_16x16x32_fp8_fp8 v[112:115], a[238:239], v[206:207], v[112:115]// 000000003FA0: D3F30070 0DC39DEE
	v_mfma_f32_16x16x32_fp8_fp8 v[116:119], a[224:225], v[208:209], v[116:119]// 000000003FA8: D3F30074 0DD3A1E0
	v_mfma_f32_16x16x32_fp8_fp8 v[116:119], a[226:227], v[210:211], v[116:119]// 000000003FB0: D3F30074 0DD3A5E2
	buffer_load_dwordx4 a[104:107], v40, s[24:27], 0 offen offset:2048// 000000003FB8: E05C1800 80866828
	v_mfma_f32_16x16x32_fp8_fp8 v[116:119], a[228:229], v[212:213], v[116:119]// 000000003FC0: D3F30074 0DD3A9E4
	v_mfma_f32_16x16x32_fp8_fp8 v[116:119], a[230:231], v[214:215], v[116:119]// 000000003FC8: D3F30074 0DD3ADE6
	v_mfma_f32_16x16x32_fp8_fp8 v[116:119], a[232:233], v[216:217], v[116:119]// 000000003FD0: D3F30074 0DD3B1E8
	v_mfma_f32_16x16x32_fp8_fp8 v[116:119], a[234:235], v[218:219], v[116:119]// 000000003FD8: D3F30074 0DD3B5EA
	buffer_load_dwordx4 a[108:111], v40, s[24:27], 0 offen offset:3072// 000000003FE0: E05C1C00 80866C28
	v_mfma_f32_16x16x32_fp8_fp8 v[116:119], a[236:237], v[220:221], v[116:119]// 000000003FE8: D3F30074 0DD3B9EC
	v_mfma_f32_16x16x32_fp8_fp8 v[116:119], a[238:239], v[222:223], v[116:119]// 000000003FF0: D3F30074 0DD3BDEE
	s_waitcnt vmcnt(28)                                        // 000000003FF8: BF8C4F7C
	v_mfma_f32_16x16x32_fp8_fp8 v[120:123], a[240:241], v[192:193], v[120:123]// 000000003FFC: D3F30078 0DE381F0
	v_mfma_f32_16x16x32_fp8_fp8 v[120:123], a[242:243], v[194:195], v[120:123]// 000000004004: D3F30078 0DE385F2
	buffer_load_dwordx4 a[112:115], v41, s[24:27], 0 offen     // 00000000400C: E05C1000 80867029
	v_mfma_f32_16x16x32_fp8_fp8 v[120:123], a[244:245], v[196:197], v[120:123]// 000000004014: D3F30078 0DE389F4
	v_mfma_f32_16x16x32_fp8_fp8 v[120:123], a[246:247], v[198:199], v[120:123]// 00000000401C: D3F30078 0DE38DF6
	v_mfma_f32_16x16x32_fp8_fp8 v[120:123], a[248:249], v[200:201], v[120:123]// 000000004024: D3F30078 0DE391F8
	v_mfma_f32_16x16x32_fp8_fp8 v[120:123], a[250:251], v[202:203], v[120:123]// 00000000402C: D3F30078 0DE395FA
	buffer_load_dwordx4 a[116:119], v41, s[24:27], 0 offen offset:1024// 000000004034: E05C1400 80867429
	v_mfma_f32_16x16x32_fp8_fp8 v[120:123], a[252:253], v[204:205], v[120:123]// 00000000403C: D3F30078 0DE399FC
	v_mfma_f32_16x16x32_fp8_fp8 v[120:123], a[254:255], v[206:207], v[120:123]// 000000004044: D3F30078 0DE39DFE
	v_mfma_f32_16x16x32_fp8_fp8 v[124:127], a[240:241], v[208:209], v[124:127]// 00000000404C: D3F3007C 0DF3A1F0
	v_mfma_f32_16x16x32_fp8_fp8 v[124:127], a[242:243], v[210:211], v[124:127]// 000000004054: D3F3007C 0DF3A5F2
	buffer_load_dwordx4 a[120:123], v41, s[24:27], 0 offen offset:2048// 00000000405C: E05C1800 80867829
	v_mfma_f32_16x16x32_fp8_fp8 v[124:127], a[244:245], v[212:213], v[124:127]// 000000004064: D3F3007C 0DF3A9F4
	v_mfma_f32_16x16x32_fp8_fp8 v[124:127], a[246:247], v[214:215], v[124:127]// 00000000406C: D3F3007C 0DF3ADF6
	v_mfma_f32_16x16x32_fp8_fp8 v[124:127], a[248:249], v[216:217], v[124:127]// 000000004074: D3F3007C 0DF3B1F8
	v_mfma_f32_16x16x32_fp8_fp8 v[124:127], a[250:251], v[218:219], v[124:127]// 00000000407C: D3F3007C 0DF3B5FA
	buffer_load_dwordx4 a[124:127], v41, s[24:27], 0 offen offset:3072// 000000004084: E05C1C00 80867C29
	v_mfma_f32_16x16x32_fp8_fp8 v[124:127], a[252:253], v[220:221], v[124:127]// 00000000408C: D3F3007C 0DF3B9FC
	v_mfma_f32_16x16x32_fp8_fp8 v[124:127], a[254:255], v[222:223], v[124:127]// 000000004094: D3F3007C 0DF3BDFE
	s_add_u32 s60, 0x200, s80                                  // 00000000409C: 803C50FF 00000200
	s_cmp_lt_u32 s60, s81                                      // 0000000040A4: BF0A513C
	s_cselect_b32 s57, s57, 0                                  // 0000000040A8: 85398039
	s_add_u32 s60, 0x200, s80                                  // 0000000040AC: 803C50FF 00000200
	s_cmp_lt_u32 s60, s81                                      // 0000000040B4: BF0A513C
	s_cselect_b32 s58, s58, 0                                  // 0000000040B8: 853A803A
	s_add_u32 s20, s57, s20                                    // 0000000040BC: 80141439
	s_addc_u32 s21, 0, s21                                     // 0000000040C0: 82151580
	s_add_u32 s24, s58, s24                                    // 0000000040C4: 8018183A
	s_addc_u32 s25, 0, s25                                     // 0000000040C8: 82191980
	s_add_u32 s92, s90, s92                                    // 0000000040CC: 805C5C5A
	s_addc_u32 s93, 0, s93                                     // 0000000040D0: 825D5D80
	s_addk_i32 s80, 0x100                                      // 0000000040D4: B7500100
	s_cmp_lt_i32 s80, s81                                      // 0000000040D8: BF045150
	s_cbranch_scc0 label_0849                                  // 0000000040DC: BF8402D1
	s_waitcnt vmcnt(24) lgkmcnt(0)                             // 0000000040E0: BF8C4078
	s_barrier                                                  // 0000000040E4: BF8A0000
	v_mfma_f32_16x16x32_fp8_fp8 v[128:131], a[0:1], v[224:225], v[128:131]// 0000000040E8: D3F30080 0E03C100
	v_mfma_f32_16x16x32_fp8_fp8 v[128:131], a[2:3], v[226:227], v[128:131]// 0000000040F0: D3F30080 0E03C502
	buffer_load_dwordx4 a[128:131], v34, s[92:95], 0 offen     // 0000000040F8: E05C1000 80978022
	v_mfma_f32_16x16x32_fp8_fp8 v[128:131], a[4:5], v[228:229], v[128:131]// 000000004100: D3F30080 0E03C904
	v_mfma_f32_16x16x32_fp8_fp8 v[128:131], a[6:7], v[230:231], v[128:131]// 000000004108: D3F30080 0E03CD06
	buffer_load_dword v26, s[20:23], 0 offen lds               // 000000004110: E0511000 8005001A
	s_add_u32 m0, 0x100, s50                                   // 000000004118: 807C32FF 00000100
	v_mfma_f32_16x16x32_fp8_fp8 v[128:131], a[8:9], v[232:233], v[128:131]// 000000004120: D3F30080 0E03D108
	v_mfma_f32_16x16x32_fp8_fp8 v[128:131], a[10:11], v[234:235], v[128:131]// 000000004128: D3F30080 0E03D50A
	buffer_load_dwordx4 a[132:135], v34, s[92:95], 0 offen offset:1024// 000000004130: E05C1400 80978422
	v_mfma_f32_16x16x32_fp8_fp8 v[128:131], a[12:13], v[236:237], v[128:131]// 000000004138: D3F30080 0E03D90C
	v_mfma_f32_16x16x32_fp8_fp8 v[128:131], a[14:15], v[238:239], v[128:131]// 000000004140: D3F30080 0E03DD0E
	buffer_load_dword v27, s[20:23], 0 offen lds               // 000000004148: E0511000 8005001B
	s_add_u32 m0, 0x200, s50                                   // 000000004150: 807C32FF 00000200
	v_mfma_f32_16x16x32_fp8_fp8 v[132:135], a[0:1], v[240:241], v[132:135]// 000000004158: D3F30084 0E13E100
	v_mfma_f32_16x16x32_fp8_fp8 v[132:135], a[2:3], v[242:243], v[132:135]// 000000004160: D3F30084 0E13E502
	buffer_load_dwordx4 a[136:139], v34, s[92:95], 0 offen offset:2048// 000000004168: E05C1800 80978822
	v_mfma_f32_16x16x32_fp8_fp8 v[132:135], a[4:5], v[244:245], v[132:135]// 000000004170: D3F30084 0E13E904
	v_mfma_f32_16x16x32_fp8_fp8 v[132:135], a[6:7], v[246:247], v[132:135]// 000000004178: D3F30084 0E13ED06
	buffer_load_dword v28, s[20:23], 0 offen lds               // 000000004180: E0511000 8005001C
	s_add_u32 m0, 0x300, s50                                   // 000000004188: 807C32FF 00000300
	v_mfma_f32_16x16x32_fp8_fp8 v[132:135], a[8:9], v[248:249], v[132:135]// 000000004190: D3F30084 0E13F108
	v_mfma_f32_16x16x32_fp8_fp8 v[132:135], a[10:11], v[250:251], v[132:135]// 000000004198: D3F30084 0E13F50A
	buffer_load_dwordx4 a[140:143], v34, s[92:95], 0 offen offset:3072// 0000000041A0: E05C1C00 80978C22
	v_mfma_f32_16x16x32_fp8_fp8 v[132:135], a[12:13], v[252:253], v[132:135]// 0000000041A8: D3F30084 0E13F90C
	v_mfma_f32_16x16x32_fp8_fp8 v[132:135], a[14:15], v[254:255], v[132:135]// 0000000041B0: D3F30084 0E13FD0E
	buffer_load_dword v29, s[20:23], 0 offen lds               // 0000000041B8: E0511000 8005001D
	s_add_u32 m0, 0x400, s50                                   // 0000000041C0: 807C32FF 00000400
	v_mfma_f32_16x16x32_fp8_fp8 v[136:139], a[16:17], v[224:225], v[136:139]// 0000000041C8: D3F30088 0E23C110
	v_mfma_f32_16x16x32_fp8_fp8 v[136:139], a[18:19], v[226:227], v[136:139]// 0000000041D0: D3F30088 0E23C512
	buffer_load_dwordx4 a[144:147], v35, s[92:95], 0 offen     // 0000000041D8: E05C1000 80979023
	v_mfma_f32_16x16x32_fp8_fp8 v[136:139], a[20:21], v[228:229], v[136:139]// 0000000041E0: D3F30088 0E23C914
	v_mfma_f32_16x16x32_fp8_fp8 v[136:139], a[22:23], v[230:231], v[136:139]// 0000000041E8: D3F30088 0E23CD16
	buffer_load_dword v30, s[20:23], 0 offen lds               // 0000000041F0: E0511000 8005001E
	s_add_u32 m0, 0x500, s50                                   // 0000000041F8: 807C32FF 00000500
	v_mfma_f32_16x16x32_fp8_fp8 v[136:139], a[24:25], v[232:233], v[136:139]// 000000004200: D3F30088 0E23D118
	v_mfma_f32_16x16x32_fp8_fp8 v[136:139], a[26:27], v[234:235], v[136:139]// 000000004208: D3F30088 0E23D51A
	buffer_load_dwordx4 a[148:151], v35, s[92:95], 0 offen offset:1024// 000000004210: E05C1400 80979423
	v_mfma_f32_16x16x32_fp8_fp8 v[136:139], a[28:29], v[236:237], v[136:139]// 000000004218: D3F30088 0E23D91C
	v_mfma_f32_16x16x32_fp8_fp8 v[136:139], a[30:31], v[238:239], v[136:139]// 000000004220: D3F30088 0E23DD1E
	buffer_load_dword v31, s[20:23], 0 offen lds               // 000000004228: E0511000 8005001F
	s_add_u32 m0, 0x600, s50                                   // 000000004230: 807C32FF 00000600
	v_mfma_f32_16x16x32_fp8_fp8 v[140:143], a[16:17], v[240:241], v[140:143]// 000000004238: D3F3008C 0E33E110
	v_mfma_f32_16x16x32_fp8_fp8 v[140:143], a[18:19], v[242:243], v[140:143]// 000000004240: D3F3008C 0E33E512
	buffer_load_dwordx4 a[152:155], v35, s[92:95], 0 offen offset:2048// 000000004248: E05C1800 80979823
	v_mfma_f32_16x16x32_fp8_fp8 v[140:143], a[20:21], v[244:245], v[140:143]// 000000004250: D3F3008C 0E33E914
	v_mfma_f32_16x16x32_fp8_fp8 v[140:143], a[22:23], v[246:247], v[140:143]// 000000004258: D3F3008C 0E33ED16
	buffer_load_dword v32, s[20:23], 0 offen lds               // 000000004260: E0511000 80050020
	s_add_u32 m0, 0x700, s50                                   // 000000004268: 807C32FF 00000700
	v_mfma_f32_16x16x32_fp8_fp8 v[140:143], a[24:25], v[248:249], v[140:143]// 000000004270: D3F3008C 0E33F118
	v_mfma_f32_16x16x32_fp8_fp8 v[140:143], a[26:27], v[250:251], v[140:143]// 000000004278: D3F3008C 0E33F51A
	buffer_load_dwordx4 a[156:159], v35, s[92:95], 0 offen offset:3072// 000000004280: E05C1C00 80979C23
	v_mfma_f32_16x16x32_fp8_fp8 v[140:143], a[28:29], v[252:253], v[140:143]// 000000004288: D3F3008C 0E33F91C
	v_mfma_f32_16x16x32_fp8_fp8 v[140:143], a[30:31], v[254:255], v[140:143]// 000000004290: D3F3008C 0E33FD1E
	buffer_load_dword v33, s[20:23], 0 offen lds               // 000000004298: E0511000 80050021
	s_add_u32 m0, 0, s51                                       // 0000000042A0: 807C3380
	s_waitcnt vmcnt(36)                                        // 0000000042A4: BF8C8F74
	v_mfma_f32_16x16x32_fp8_fp8 v[144:147], a[32:33], v[224:225], v[144:147]// 0000000042A8: D3F30090 0E43C120
	v_mfma_f32_16x16x32_fp8_fp8 v[144:147], a[34:35], v[226:227], v[144:147]// 0000000042B0: D3F30090 0E43C522
	buffer_load_dwordx4 a[160:163], v36, s[92:95], 0 offen     // 0000000042B8: E05C1000 8097A024
	v_mfma_f32_16x16x32_fp8_fp8 v[144:147], a[36:37], v[228:229], v[144:147]// 0000000042C0: D3F30090 0E43C924
	v_mfma_f32_16x16x32_fp8_fp8 v[144:147], a[38:39], v[230:231], v[144:147]// 0000000042C8: D3F30090 0E43CD26
	v_mfma_f32_16x16x32_fp8_fp8 v[144:147], a[40:41], v[232:233], v[144:147]// 0000000042D0: D3F30090 0E43D128
	v_mfma_f32_16x16x32_fp8_fp8 v[144:147], a[42:43], v[234:235], v[144:147]// 0000000042D8: D3F30090 0E43D52A
	buffer_load_dwordx4 a[164:167], v36, s[92:95], 0 offen offset:1024// 0000000042E0: E05C1400 8097A424
	v_mfma_f32_16x16x32_fp8_fp8 v[144:147], a[44:45], v[236:237], v[144:147]// 0000000042E8: D3F30090 0E43D92C
	v_mfma_f32_16x16x32_fp8_fp8 v[144:147], a[46:47], v[238:239], v[144:147]// 0000000042F0: D3F30090 0E43DD2E
	v_mfma_f32_16x16x32_fp8_fp8 v[148:151], a[32:33], v[240:241], v[148:151]// 0000000042F8: D3F30094 0E53E120
	v_mfma_f32_16x16x32_fp8_fp8 v[148:151], a[34:35], v[242:243], v[148:151]// 000000004300: D3F30094 0E53E522
	buffer_load_dwordx4 a[168:171], v36, s[92:95], 0 offen offset:2048// 000000004308: E05C1800 8097A824
	v_mfma_f32_16x16x32_fp8_fp8 v[148:151], a[36:37], v[244:245], v[148:151]// 000000004310: D3F30094 0E53E924
	v_mfma_f32_16x16x32_fp8_fp8 v[148:151], a[38:39], v[246:247], v[148:151]// 000000004318: D3F30094 0E53ED26
	v_mfma_f32_16x16x32_fp8_fp8 v[148:151], a[40:41], v[248:249], v[148:151]// 000000004320: D3F30094 0E53F128
	v_mfma_f32_16x16x32_fp8_fp8 v[148:151], a[42:43], v[250:251], v[148:151]// 000000004328: D3F30094 0E53F52A
	buffer_load_dwordx4 a[172:175], v36, s[92:95], 0 offen offset:3072// 000000004330: E05C1C00 8097AC24
	v_mfma_f32_16x16x32_fp8_fp8 v[148:151], a[44:45], v[252:253], v[148:151]// 000000004338: D3F30094 0E53F92C
	v_mfma_f32_16x16x32_fp8_fp8 v[148:151], a[46:47], v[254:255], v[148:151]// 000000004340: D3F30094 0E53FD2E
	s_waitcnt vmcnt(36)                                        // 000000004348: BF8C8F74
	v_mfma_f32_16x16x32_fp8_fp8 v[152:155], a[48:49], v[224:225], v[152:155]// 00000000434C: D3F30098 0E63C130
	v_mfma_f32_16x16x32_fp8_fp8 v[152:155], a[50:51], v[226:227], v[152:155]// 000000004354: D3F30098 0E63C532
	buffer_load_dwordx4 a[176:179], v37, s[92:95], 0 offen     // 00000000435C: E05C1000 8097B025
	v_mfma_f32_16x16x32_fp8_fp8 v[152:155], a[52:53], v[228:229], v[152:155]// 000000004364: D3F30098 0E63C934
	v_mfma_f32_16x16x32_fp8_fp8 v[152:155], a[54:55], v[230:231], v[152:155]// 00000000436C: D3F30098 0E63CD36
	v_mfma_f32_16x16x32_fp8_fp8 v[152:155], a[56:57], v[232:233], v[152:155]// 000000004374: D3F30098 0E63D138
	v_mfma_f32_16x16x32_fp8_fp8 v[152:155], a[58:59], v[234:235], v[152:155]// 00000000437C: D3F30098 0E63D53A
	buffer_load_dwordx4 a[180:183], v37, s[92:95], 0 offen offset:1024// 000000004384: E05C1400 8097B425
	v_mfma_f32_16x16x32_fp8_fp8 v[152:155], a[60:61], v[236:237], v[152:155]// 00000000438C: D3F30098 0E63D93C
	v_mfma_f32_16x16x32_fp8_fp8 v[152:155], a[62:63], v[238:239], v[152:155]// 000000004394: D3F30098 0E63DD3E
	v_mfma_f32_16x16x32_fp8_fp8 v[156:159], a[48:49], v[240:241], v[156:159]// 00000000439C: D3F3009C 0E73E130
	v_mfma_f32_16x16x32_fp8_fp8 v[156:159], a[50:51], v[242:243], v[156:159]// 0000000043A4: D3F3009C 0E73E532
	buffer_load_dwordx4 a[184:187], v37, s[92:95], 0 offen offset:2048// 0000000043AC: E05C1800 8097B825
	v_mfma_f32_16x16x32_fp8_fp8 v[156:159], a[52:53], v[244:245], v[156:159]// 0000000043B4: D3F3009C 0E73E934
	v_mfma_f32_16x16x32_fp8_fp8 v[156:159], a[54:55], v[246:247], v[156:159]// 0000000043BC: D3F3009C 0E73ED36
	v_mfma_f32_16x16x32_fp8_fp8 v[156:159], a[56:57], v[248:249], v[156:159]// 0000000043C4: D3F3009C 0E73F138
	v_mfma_f32_16x16x32_fp8_fp8 v[156:159], a[58:59], v[250:251], v[156:159]// 0000000043CC: D3F3009C 0E73F53A
	buffer_load_dwordx4 a[188:191], v37, s[92:95], 0 offen offset:3072// 0000000043D4: E05C1C00 8097BC25
	v_mfma_f32_16x16x32_fp8_fp8 v[156:159], a[60:61], v[252:253], v[156:159]// 0000000043DC: D3F3009C 0E73F93C
	v_mfma_f32_16x16x32_fp8_fp8 v[156:159], a[62:63], v[254:255], v[156:159]// 0000000043E4: D3F3009C 0E73FD3E
	s_waitcnt vmcnt(36)                                        // 0000000043EC: BF8C8F74
	v_mfma_f32_16x16x32_fp8_fp8 v[160:163], a[64:65], v[224:225], v[160:163]// 0000000043F0: D3F300A0 0E83C140
	v_mfma_f32_16x16x32_fp8_fp8 v[160:163], a[66:67], v[226:227], v[160:163]// 0000000043F8: D3F300A0 0E83C542
	buffer_load_dwordx4 a[192:195], v38, s[92:95], 0 offen     // 000000004400: E05C1000 8097C026
	v_mfma_f32_16x16x32_fp8_fp8 v[160:163], a[68:69], v[228:229], v[160:163]// 000000004408: D3F300A0 0E83C944
	v_mfma_f32_16x16x32_fp8_fp8 v[160:163], a[70:71], v[230:231], v[160:163]// 000000004410: D3F300A0 0E83CD46
	v_mfma_f32_16x16x32_fp8_fp8 v[160:163], a[72:73], v[232:233], v[160:163]// 000000004418: D3F300A0 0E83D148
	v_mfma_f32_16x16x32_fp8_fp8 v[160:163], a[74:75], v[234:235], v[160:163]// 000000004420: D3F300A0 0E83D54A
	buffer_load_dwordx4 a[196:199], v38, s[92:95], 0 offen offset:1024// 000000004428: E05C1400 8097C426
	v_mfma_f32_16x16x32_fp8_fp8 v[160:163], a[76:77], v[236:237], v[160:163]// 000000004430: D3F300A0 0E83D94C
	v_mfma_f32_16x16x32_fp8_fp8 v[160:163], a[78:79], v[238:239], v[160:163]// 000000004438: D3F300A0 0E83DD4E
	v_mfma_f32_16x16x32_fp8_fp8 v[164:167], a[64:65], v[240:241], v[164:167]// 000000004440: D3F300A4 0E93E140
	v_mfma_f32_16x16x32_fp8_fp8 v[164:167], a[66:67], v[242:243], v[164:167]// 000000004448: D3F300A4 0E93E542
	buffer_load_dwordx4 a[200:203], v38, s[92:95], 0 offen offset:2048// 000000004450: E05C1800 8097C826
	v_mfma_f32_16x16x32_fp8_fp8 v[164:167], a[68:69], v[244:245], v[164:167]// 000000004458: D3F300A4 0E93E944
	v_mfma_f32_16x16x32_fp8_fp8 v[164:167], a[70:71], v[246:247], v[164:167]// 000000004460: D3F300A4 0E93ED46
	v_mfma_f32_16x16x32_fp8_fp8 v[164:167], a[72:73], v[248:249], v[164:167]// 000000004468: D3F300A4 0E93F148
	v_mfma_f32_16x16x32_fp8_fp8 v[164:167], a[74:75], v[250:251], v[164:167]// 000000004470: D3F300A4 0E93F54A
	buffer_load_dwordx4 a[204:207], v38, s[92:95], 0 offen offset:3072// 000000004478: E05C1C00 8097CC26
	v_mfma_f32_16x16x32_fp8_fp8 v[164:167], a[76:77], v[252:253], v[164:167]// 000000004480: D3F300A4 0E93F94C
	v_mfma_f32_16x16x32_fp8_fp8 v[164:167], a[78:79], v[254:255], v[164:167]// 000000004488: D3F300A4 0E93FD4E
	s_waitcnt vmcnt(36)                                        // 000000004490: BF8C8F74
	v_mfma_f32_16x16x32_fp8_fp8 v[168:171], a[80:81], v[224:225], v[168:171]// 000000004494: D3F300A8 0EA3C150
	v_mfma_f32_16x16x32_fp8_fp8 v[168:171], a[82:83], v[226:227], v[168:171]// 00000000449C: D3F300A8 0EA3C552
	buffer_load_dwordx4 a[208:211], v39, s[92:95], 0 offen     // 0000000044A4: E05C1000 8097D027
	v_mfma_f32_16x16x32_fp8_fp8 v[168:171], a[84:85], v[228:229], v[168:171]// 0000000044AC: D3F300A8 0EA3C954
	v_mfma_f32_16x16x32_fp8_fp8 v[168:171], a[86:87], v[230:231], v[168:171]// 0000000044B4: D3F300A8 0EA3CD56
	v_mfma_f32_16x16x32_fp8_fp8 v[168:171], a[88:89], v[232:233], v[168:171]// 0000000044BC: D3F300A8 0EA3D158
	v_mfma_f32_16x16x32_fp8_fp8 v[168:171], a[90:91], v[234:235], v[168:171]// 0000000044C4: D3F300A8 0EA3D55A
	buffer_load_dwordx4 a[212:215], v39, s[92:95], 0 offen offset:1024// 0000000044CC: E05C1400 8097D427
	v_mfma_f32_16x16x32_fp8_fp8 v[168:171], a[92:93], v[236:237], v[168:171]// 0000000044D4: D3F300A8 0EA3D95C
	v_mfma_f32_16x16x32_fp8_fp8 v[168:171], a[94:95], v[238:239], v[168:171]// 0000000044DC: D3F300A8 0EA3DD5E
	v_mfma_f32_16x16x32_fp8_fp8 v[172:175], a[80:81], v[240:241], v[172:175]// 0000000044E4: D3F300AC 0EB3E150
	v_mfma_f32_16x16x32_fp8_fp8 v[172:175], a[82:83], v[242:243], v[172:175]// 0000000044EC: D3F300AC 0EB3E552
	buffer_load_dwordx4 a[216:219], v39, s[92:95], 0 offen offset:2048// 0000000044F4: E05C1800 8097D827
	v_mfma_f32_16x16x32_fp8_fp8 v[172:175], a[84:85], v[244:245], v[172:175]// 0000000044FC: D3F300AC 0EB3E954
	v_mfma_f32_16x16x32_fp8_fp8 v[172:175], a[86:87], v[246:247], v[172:175]// 000000004504: D3F300AC 0EB3ED56
	v_mfma_f32_16x16x32_fp8_fp8 v[172:175], a[88:89], v[248:249], v[172:175]// 00000000450C: D3F300AC 0EB3F158
	v_mfma_f32_16x16x32_fp8_fp8 v[172:175], a[90:91], v[250:251], v[172:175]// 000000004514: D3F300AC 0EB3F55A
	buffer_load_dwordx4 a[220:223], v39, s[92:95], 0 offen offset:3072// 00000000451C: E05C1C00 8097DC27
	v_mfma_f32_16x16x32_fp8_fp8 v[172:175], a[92:93], v[252:253], v[172:175]// 000000004524: D3F300AC 0EB3F95C
	v_mfma_f32_16x16x32_fp8_fp8 v[172:175], a[94:95], v[254:255], v[172:175]// 00000000452C: D3F300AC 0EB3FD5E
	s_waitcnt vmcnt(36)                                        // 000000004534: BF8C8F74
	v_mfma_f32_16x16x32_fp8_fp8 v[176:179], a[96:97], v[224:225], v[176:179]// 000000004538: D3F300B0 0EC3C160
	v_mfma_f32_16x16x32_fp8_fp8 v[176:179], a[98:99], v[226:227], v[176:179]// 000000004540: D3F300B0 0EC3C562
	buffer_load_dwordx4 a[224:227], v40, s[92:95], 0 offen     // 000000004548: E05C1000 8097E028
	v_mfma_f32_16x16x32_fp8_fp8 v[176:179], a[100:101], v[228:229], v[176:179]// 000000004550: D3F300B0 0EC3C964
	v_mfma_f32_16x16x32_fp8_fp8 v[176:179], a[102:103], v[230:231], v[176:179]// 000000004558: D3F300B0 0EC3CD66
	v_mfma_f32_16x16x32_fp8_fp8 v[176:179], a[104:105], v[232:233], v[176:179]// 000000004560: D3F300B0 0EC3D168
	v_mfma_f32_16x16x32_fp8_fp8 v[176:179], a[106:107], v[234:235], v[176:179]// 000000004568: D3F300B0 0EC3D56A
	buffer_load_dwordx4 a[228:231], v40, s[92:95], 0 offen offset:1024// 000000004570: E05C1400 8097E428
	v_mfma_f32_16x16x32_fp8_fp8 v[176:179], a[108:109], v[236:237], v[176:179]// 000000004578: D3F300B0 0EC3D96C
	v_mfma_f32_16x16x32_fp8_fp8 v[176:179], a[110:111], v[238:239], v[176:179]// 000000004580: D3F300B0 0EC3DD6E
	v_mfma_f32_16x16x32_fp8_fp8 v[180:183], a[96:97], v[240:241], v[180:183]// 000000004588: D3F300B4 0ED3E160
	v_mfma_f32_16x16x32_fp8_fp8 v[180:183], a[98:99], v[242:243], v[180:183]// 000000004590: D3F300B4 0ED3E562
	buffer_load_dwordx4 a[232:235], v40, s[92:95], 0 offen offset:2048// 000000004598: E05C1800 8097E828
	v_mfma_f32_16x16x32_fp8_fp8 v[180:183], a[100:101], v[244:245], v[180:183]// 0000000045A0: D3F300B4 0ED3E964
	v_mfma_f32_16x16x32_fp8_fp8 v[180:183], a[102:103], v[246:247], v[180:183]// 0000000045A8: D3F300B4 0ED3ED66
	v_mfma_f32_16x16x32_fp8_fp8 v[180:183], a[104:105], v[248:249], v[180:183]// 0000000045B0: D3F300B4 0ED3F168
	v_mfma_f32_16x16x32_fp8_fp8 v[180:183], a[106:107], v[250:251], v[180:183]// 0000000045B8: D3F300B4 0ED3F56A
	buffer_load_dwordx4 a[236:239], v40, s[92:95], 0 offen offset:3072// 0000000045C0: E05C1C00 8097EC28
	v_mfma_f32_16x16x32_fp8_fp8 v[180:183], a[108:109], v[252:253], v[180:183]// 0000000045C8: D3F300B4 0ED3F96C
	v_mfma_f32_16x16x32_fp8_fp8 v[180:183], a[110:111], v[254:255], v[180:183]// 0000000045D0: D3F300B4 0ED3FD6E
	s_waitcnt vmcnt(36)                                        // 0000000045D8: BF8C8F74
	v_mfma_f32_16x16x32_fp8_fp8 v[184:187], a[112:113], v[224:225], v[184:187]// 0000000045DC: D3F300B8 0EE3C170
	v_mfma_f32_16x16x32_fp8_fp8 v[184:187], a[114:115], v[226:227], v[184:187]// 0000000045E4: D3F300B8 0EE3C572
	buffer_load_dwordx4 a[240:243], v41, s[92:95], 0 offen     // 0000000045EC: E05C1000 8097F029
	v_mfma_f32_16x16x32_fp8_fp8 v[184:187], a[116:117], v[228:229], v[184:187]// 0000000045F4: D3F300B8 0EE3C974
	v_mfma_f32_16x16x32_fp8_fp8 v[184:187], a[118:119], v[230:231], v[184:187]// 0000000045FC: D3F300B8 0EE3CD76
	v_mfma_f32_16x16x32_fp8_fp8 v[184:187], a[120:121], v[232:233], v[184:187]// 000000004604: D3F300B8 0EE3D178
	v_mfma_f32_16x16x32_fp8_fp8 v[184:187], a[122:123], v[234:235], v[184:187]// 00000000460C: D3F300B8 0EE3D57A
	buffer_load_dwordx4 a[244:247], v41, s[92:95], 0 offen offset:1024// 000000004614: E05C1400 8097F429
	v_mfma_f32_16x16x32_fp8_fp8 v[184:187], a[124:125], v[236:237], v[184:187]// 00000000461C: D3F300B8 0EE3D97C
	v_mfma_f32_16x16x32_fp8_fp8 v[184:187], a[126:127], v[238:239], v[184:187]// 000000004624: D3F300B8 0EE3DD7E
	v_mfma_f32_16x16x32_fp8_fp8 v[188:191], a[112:113], v[240:241], v[188:191]// 00000000462C: D3F300BC 0EF3E170
	v_mfma_f32_16x16x32_fp8_fp8 v[188:191], a[114:115], v[242:243], v[188:191]// 000000004634: D3F300BC 0EF3E572
	buffer_load_dwordx4 a[248:251], v41, s[92:95], 0 offen offset:2048// 00000000463C: E05C1800 8097F829
	v_mfma_f32_16x16x32_fp8_fp8 v[188:191], a[116:117], v[244:245], v[188:191]// 000000004644: D3F300BC 0EF3E974
	v_mfma_f32_16x16x32_fp8_fp8 v[188:191], a[118:119], v[246:247], v[188:191]// 00000000464C: D3F300BC 0EF3ED76
	v_mfma_f32_16x16x32_fp8_fp8 v[188:191], a[120:121], v[248:249], v[188:191]// 000000004654: D3F300BC 0EF3F178
	v_mfma_f32_16x16x32_fp8_fp8 v[188:191], a[122:123], v[250:251], v[188:191]// 00000000465C: D3F300BC 0EF3F57A
	buffer_load_dwordx4 a[252:255], v41, s[92:95], 0 offen offset:3072// 000000004664: E05C1C00 8097FC29
	v_mfma_f32_16x16x32_fp8_fp8 v[188:191], a[124:125], v[252:253], v[188:191]// 00000000466C: D3F300BC 0EF3F97C
	v_mfma_f32_16x16x32_fp8_fp8 v[188:191], a[126:127], v[254:255], v[188:191]// 000000004674: D3F300BC 0EF3FD7E
	s_waitcnt vmcnt(24)                                        // 00000000467C: BF8C4F78
	s_barrier                                                  // 000000004680: BF8A0000
	v_mfma_f32_16x16x32_fp8_fp8 v[64:67], a[128:129], v[224:225], v[64:67]// 000000004684: D3F30040 0D03C180
	v_mfma_f32_16x16x32_fp8_fp8 v[64:67], a[130:131], v[226:227], v[64:67]// 00000000468C: D3F30040 0D03C582
	buffer_load_dwordx4 a[0:3], v34, s[24:27], 0 offen         // 000000004694: E05C1000 80860022
	v_mfma_f32_16x16x32_fp8_fp8 v[64:67], a[132:133], v[228:229], v[64:67]// 00000000469C: D3F30040 0D03C984
	v_mfma_f32_16x16x32_fp8_fp8 v[64:67], a[134:135], v[230:231], v[64:67]// 0000000046A4: D3F30040 0D03CD86
	v_mfma_f32_16x16x32_fp8_fp8 v[64:67], a[136:137], v[232:233], v[64:67]// 0000000046AC: D3F30040 0D03D188
	v_mfma_f32_16x16x32_fp8_fp8 v[64:67], a[138:139], v[234:235], v[64:67]// 0000000046B4: D3F30040 0D03D58A
	buffer_load_dwordx4 a[4:7], v34, s[24:27], 0 offen offset:1024// 0000000046BC: E05C1400 80860422
	v_mfma_f32_16x16x32_fp8_fp8 v[64:67], a[140:141], v[236:237], v[64:67]// 0000000046C4: D3F30040 0D03D98C
	v_mfma_f32_16x16x32_fp8_fp8 v[64:67], a[142:143], v[238:239], v[64:67]// 0000000046CC: D3F30040 0D03DD8E
	v_mfma_f32_16x16x32_fp8_fp8 v[68:71], a[128:129], v[240:241], v[68:71]// 0000000046D4: D3F30044 0D13E180
	v_mfma_f32_16x16x32_fp8_fp8 v[68:71], a[130:131], v[242:243], v[68:71]// 0000000046DC: D3F30044 0D13E582
	buffer_load_dwordx4 a[8:11], v34, s[24:27], 0 offen offset:2048// 0000000046E4: E05C1800 80860822
	v_mfma_f32_16x16x32_fp8_fp8 v[68:71], a[132:133], v[244:245], v[68:71]// 0000000046EC: D3F30044 0D13E984
	v_mfma_f32_16x16x32_fp8_fp8 v[68:71], a[134:135], v[246:247], v[68:71]// 0000000046F4: D3F30044 0D13ED86
	v_mfma_f32_16x16x32_fp8_fp8 v[68:71], a[136:137], v[248:249], v[68:71]// 0000000046FC: D3F30044 0D13F188
	v_mfma_f32_16x16x32_fp8_fp8 v[68:71], a[138:139], v[250:251], v[68:71]// 000000004704: D3F30044 0D13F58A
	buffer_load_dwordx4 a[12:15], v34, s[24:27], 0 offen offset:3072// 00000000470C: E05C1C00 80860C22
	v_mfma_f32_16x16x32_fp8_fp8 v[68:71], a[140:141], v[252:253], v[68:71]// 000000004714: D3F30044 0D13F98C
	v_mfma_f32_16x16x32_fp8_fp8 v[68:71], a[142:143], v[254:255], v[68:71]// 00000000471C: D3F30044 0D13FD8E
	v_mfma_f32_16x16x32_fp8_fp8 v[72:75], a[144:145], v[224:225], v[72:75]// 000000004724: D3F30048 0D23C190
	v_mfma_f32_16x16x32_fp8_fp8 v[72:75], a[146:147], v[226:227], v[72:75]// 00000000472C: D3F30048 0D23C592
	buffer_load_dwordx4 a[16:19], v35, s[24:27], 0 offen       // 000000004734: E05C1000 80861023
	v_mfma_f32_16x16x32_fp8_fp8 v[72:75], a[148:149], v[228:229], v[72:75]// 00000000473C: D3F30048 0D23C994
	v_mfma_f32_16x16x32_fp8_fp8 v[72:75], a[150:151], v[230:231], v[72:75]// 000000004744: D3F30048 0D23CD96
	v_mfma_f32_16x16x32_fp8_fp8 v[72:75], a[152:153], v[232:233], v[72:75]// 00000000474C: D3F30048 0D23D198
	v_mfma_f32_16x16x32_fp8_fp8 v[72:75], a[154:155], v[234:235], v[72:75]// 000000004754: D3F30048 0D23D59A
	buffer_load_dwordx4 a[20:23], v35, s[24:27], 0 offen offset:1024// 00000000475C: E05C1400 80861423
	v_mfma_f32_16x16x32_fp8_fp8 v[72:75], a[156:157], v[236:237], v[72:75]// 000000004764: D3F30048 0D23D99C
	v_mfma_f32_16x16x32_fp8_fp8 v[72:75], a[158:159], v[238:239], v[72:75]// 00000000476C: D3F30048 0D23DD9E
	v_mfma_f32_16x16x32_fp8_fp8 v[76:79], a[144:145], v[240:241], v[76:79]// 000000004774: D3F3004C 0D33E190
	v_mfma_f32_16x16x32_fp8_fp8 v[76:79], a[146:147], v[242:243], v[76:79]// 00000000477C: D3F3004C 0D33E592
	buffer_load_dwordx4 a[24:27], v35, s[24:27], 0 offen offset:2048// 000000004784: E05C1800 80861823
	v_mfma_f32_16x16x32_fp8_fp8 v[76:79], a[148:149], v[244:245], v[76:79]// 00000000478C: D3F3004C 0D33E994
	v_mfma_f32_16x16x32_fp8_fp8 v[76:79], a[150:151], v[246:247], v[76:79]// 000000004794: D3F3004C 0D33ED96
	v_mfma_f32_16x16x32_fp8_fp8 v[76:79], a[152:153], v[248:249], v[76:79]// 00000000479C: D3F3004C 0D33F198
	v_mfma_f32_16x16x32_fp8_fp8 v[76:79], a[154:155], v[250:251], v[76:79]// 0000000047A4: D3F3004C 0D33F59A
	buffer_load_dwordx4 a[28:31], v35, s[24:27], 0 offen offset:3072// 0000000047AC: E05C1C00 80861C23
	v_mfma_f32_16x16x32_fp8_fp8 v[76:79], a[156:157], v[252:253], v[76:79]// 0000000047B4: D3F3004C 0D33F99C
	v_mfma_f32_16x16x32_fp8_fp8 v[76:79], a[158:159], v[254:255], v[76:79]// 0000000047BC: D3F3004C 0D33FD9E
	s_waitcnt vmcnt(28)                                        // 0000000047C4: BF8C4F7C
	v_mfma_f32_16x16x32_fp8_fp8 v[80:83], a[160:161], v[224:225], v[80:83]// 0000000047C8: D3F30050 0D43C1A0
	v_mfma_f32_16x16x32_fp8_fp8 v[80:83], a[162:163], v[226:227], v[80:83]// 0000000047D0: D3F30050 0D43C5A2
	buffer_load_dwordx4 a[32:35], v36, s[24:27], 0 offen       // 0000000047D8: E05C1000 80862024
	v_mfma_f32_16x16x32_fp8_fp8 v[80:83], a[164:165], v[228:229], v[80:83]// 0000000047E0: D3F30050 0D43C9A4
	v_mfma_f32_16x16x32_fp8_fp8 v[80:83], a[166:167], v[230:231], v[80:83]// 0000000047E8: D3F30050 0D43CDA6
	ds_read_b128 v[192:195], v2                                // 0000000047F0: D9FE0000 C0000002
	v_mfma_f32_16x16x32_fp8_fp8 v[80:83], a[168:169], v[232:233], v[80:83]// 0000000047F8: D3F30050 0D43D1A8
	v_mfma_f32_16x16x32_fp8_fp8 v[80:83], a[170:171], v[234:235], v[80:83]// 000000004800: D3F30050 0D43D5AA
	buffer_load_dwordx4 a[36:39], v36, s[24:27], 0 offen offset:1024// 000000004808: E05C1400 80862424
	v_mfma_f32_16x16x32_fp8_fp8 v[80:83], a[172:173], v[236:237], v[80:83]// 000000004810: D3F30050 0D43D9AC
	v_mfma_f32_16x16x32_fp8_fp8 v[80:83], a[174:175], v[238:239], v[80:83]// 000000004818: D3F30050 0D43DDAE
	ds_read_b128 v[196:199], v2 offset:64                      // 000000004820: D9FE0040 C4000002
	v_mfma_f32_16x16x32_fp8_fp8 v[84:87], a[160:161], v[240:241], v[84:87]// 000000004828: D3F30054 0D53E1A0
	v_mfma_f32_16x16x32_fp8_fp8 v[84:87], a[162:163], v[242:243], v[84:87]// 000000004830: D3F30054 0D53E5A2
	buffer_load_dwordx4 a[40:43], v36, s[24:27], 0 offen offset:2048// 000000004838: E05C1800 80862824
	v_mfma_f32_16x16x32_fp8_fp8 v[84:87], a[164:165], v[244:245], v[84:87]// 000000004840: D3F30054 0D53E9A4
	v_mfma_f32_16x16x32_fp8_fp8 v[84:87], a[166:167], v[246:247], v[84:87]// 000000004848: D3F30054 0D53EDA6
	ds_read_b128 v[200:203], v2 offset:128                     // 000000004850: D9FE0080 C8000002
	v_mfma_f32_16x16x32_fp8_fp8 v[84:87], a[168:169], v[248:249], v[84:87]// 000000004858: D3F30054 0D53F1A8
	v_mfma_f32_16x16x32_fp8_fp8 v[84:87], a[170:171], v[250:251], v[84:87]// 000000004860: D3F30054 0D53F5AA
	buffer_load_dwordx4 a[44:47], v36, s[24:27], 0 offen offset:3072// 000000004868: E05C1C00 80862C24
	v_mfma_f32_16x16x32_fp8_fp8 v[84:87], a[172:173], v[252:253], v[84:87]// 000000004870: D3F30054 0D53F9AC
	v_mfma_f32_16x16x32_fp8_fp8 v[84:87], a[174:175], v[254:255], v[84:87]// 000000004878: D3F30054 0D53FDAE
	ds_read_b128 v[204:207], v2 offset:192                     // 000000004880: D9FE00C0 CC000002
	s_waitcnt vmcnt(28)                                        // 000000004888: BF8C4F7C
	v_mfma_f32_16x16x32_fp8_fp8 v[88:91], a[176:177], v[224:225], v[88:91]// 00000000488C: D3F30058 0D63C1B0
	v_mfma_f32_16x16x32_fp8_fp8 v[88:91], a[178:179], v[226:227], v[88:91]// 000000004894: D3F30058 0D63C5B2
	buffer_load_dwordx4 a[48:51], v37, s[24:27], 0 offen       // 00000000489C: E05C1000 80863025
	v_mfma_f32_16x16x32_fp8_fp8 v[88:91], a[180:181], v[228:229], v[88:91]// 0000000048A4: D3F30058 0D63C9B4
	v_mfma_f32_16x16x32_fp8_fp8 v[88:91], a[182:183], v[230:231], v[88:91]// 0000000048AC: D3F30058 0D63CDB6
	ds_read_b128 v[208:211], v2 offset:1024                    // 0000000048B4: D9FE0400 D0000002
	v_mfma_f32_16x16x32_fp8_fp8 v[88:91], a[184:185], v[232:233], v[88:91]// 0000000048BC: D3F30058 0D63D1B8
	v_mfma_f32_16x16x32_fp8_fp8 v[88:91], a[186:187], v[234:235], v[88:91]// 0000000048C4: D3F30058 0D63D5BA
	buffer_load_dwordx4 a[52:55], v37, s[24:27], 0 offen offset:1024// 0000000048CC: E05C1400 80863425
	v_mfma_f32_16x16x32_fp8_fp8 v[88:91], a[188:189], v[236:237], v[88:91]// 0000000048D4: D3F30058 0D63D9BC
	v_mfma_f32_16x16x32_fp8_fp8 v[88:91], a[190:191], v[238:239], v[88:91]// 0000000048DC: D3F30058 0D63DDBE
	ds_read_b128 v[212:215], v2 offset:1088                    // 0000000048E4: D9FE0440 D4000002
	v_mfma_f32_16x16x32_fp8_fp8 v[92:95], a[176:177], v[240:241], v[92:95]// 0000000048EC: D3F3005C 0D73E1B0
	v_mfma_f32_16x16x32_fp8_fp8 v[92:95], a[178:179], v[242:243], v[92:95]// 0000000048F4: D3F3005C 0D73E5B2
	buffer_load_dwordx4 a[56:59], v37, s[24:27], 0 offen offset:2048// 0000000048FC: E05C1800 80863825
	v_mfma_f32_16x16x32_fp8_fp8 v[92:95], a[180:181], v[244:245], v[92:95]// 000000004904: D3F3005C 0D73E9B4
	v_mfma_f32_16x16x32_fp8_fp8 v[92:95], a[182:183], v[246:247], v[92:95]// 00000000490C: D3F3005C 0D73EDB6
	ds_read_b128 v[216:219], v2 offset:1152                    // 000000004914: D9FE0480 D8000002
	v_mfma_f32_16x16x32_fp8_fp8 v[92:95], a[184:185], v[248:249], v[92:95]// 00000000491C: D3F3005C 0D73F1B8
	v_mfma_f32_16x16x32_fp8_fp8 v[92:95], a[186:187], v[250:251], v[92:95]// 000000004924: D3F3005C 0D73F5BA
	buffer_load_dwordx4 a[60:63], v37, s[24:27], 0 offen offset:3072// 00000000492C: E05C1C00 80863C25
	v_mfma_f32_16x16x32_fp8_fp8 v[92:95], a[188:189], v[252:253], v[92:95]// 000000004934: D3F3005C 0D73F9BC
	v_mfma_f32_16x16x32_fp8_fp8 v[92:95], a[190:191], v[254:255], v[92:95]// 00000000493C: D3F3005C 0D73FDBE
	ds_read_b128 v[220:223], v2 offset:1216                    // 000000004944: D9FE04C0 DC000002
	s_waitcnt vmcnt(28)                                        // 00000000494C: BF8C4F7C
	v_mfma_f32_16x16x32_fp8_fp8 v[96:99], a[192:193], v[224:225], v[96:99]// 000000004950: D3F30060 0D83C1C0
	v_mfma_f32_16x16x32_fp8_fp8 v[96:99], a[194:195], v[226:227], v[96:99]// 000000004958: D3F30060 0D83C5C2
	buffer_load_dwordx4 a[64:67], v38, s[24:27], 0 offen       // 000000004960: E05C1000 80864026
	v_mfma_f32_16x16x32_fp8_fp8 v[96:99], a[196:197], v[228:229], v[96:99]// 000000004968: D3F30060 0D83C9C4
	v_mfma_f32_16x16x32_fp8_fp8 v[96:99], a[198:199], v[230:231], v[96:99]// 000000004970: D3F30060 0D83CDC6
	v_mfma_f32_16x16x32_fp8_fp8 v[96:99], a[200:201], v[232:233], v[96:99]// 000000004978: D3F30060 0D83D1C8
	v_mfma_f32_16x16x32_fp8_fp8 v[96:99], a[202:203], v[234:235], v[96:99]// 000000004980: D3F30060 0D83D5CA
	buffer_load_dwordx4 a[68:71], v38, s[24:27], 0 offen offset:1024// 000000004988: E05C1400 80864426
	v_mfma_f32_16x16x32_fp8_fp8 v[96:99], a[204:205], v[236:237], v[96:99]// 000000004990: D3F30060 0D83D9CC
	v_mfma_f32_16x16x32_fp8_fp8 v[96:99], a[206:207], v[238:239], v[96:99]// 000000004998: D3F30060 0D83DDCE
	v_mfma_f32_16x16x32_fp8_fp8 v[100:103], a[192:193], v[240:241], v[100:103]// 0000000049A0: D3F30064 0D93E1C0
	v_mfma_f32_16x16x32_fp8_fp8 v[100:103], a[194:195], v[242:243], v[100:103]// 0000000049A8: D3F30064 0D93E5C2
	buffer_load_dwordx4 a[72:75], v38, s[24:27], 0 offen offset:2048// 0000000049B0: E05C1800 80864826
	v_mfma_f32_16x16x32_fp8_fp8 v[100:103], a[196:197], v[244:245], v[100:103]// 0000000049B8: D3F30064 0D93E9C4
	v_mfma_f32_16x16x32_fp8_fp8 v[100:103], a[198:199], v[246:247], v[100:103]// 0000000049C0: D3F30064 0D93EDC6
	v_mfma_f32_16x16x32_fp8_fp8 v[100:103], a[200:201], v[248:249], v[100:103]// 0000000049C8: D3F30064 0D93F1C8
	v_mfma_f32_16x16x32_fp8_fp8 v[100:103], a[202:203], v[250:251], v[100:103]// 0000000049D0: D3F30064 0D93F5CA
	buffer_load_dwordx4 a[76:79], v38, s[24:27], 0 offen offset:3072// 0000000049D8: E05C1C00 80864C26
	v_mfma_f32_16x16x32_fp8_fp8 v[100:103], a[204:205], v[252:253], v[100:103]// 0000000049E0: D3F30064 0D93F9CC
	v_mfma_f32_16x16x32_fp8_fp8 v[100:103], a[206:207], v[254:255], v[100:103]// 0000000049E8: D3F30064 0D93FDCE
	s_waitcnt vmcnt(28)                                        // 0000000049F0: BF8C4F7C
	v_mfma_f32_16x16x32_fp8_fp8 v[104:107], a[208:209], v[224:225], v[104:107]// 0000000049F4: D3F30068 0DA3C1D0
	v_mfma_f32_16x16x32_fp8_fp8 v[104:107], a[210:211], v[226:227], v[104:107]// 0000000049FC: D3F30068 0DA3C5D2
	buffer_load_dwordx4 a[80:83], v39, s[24:27], 0 offen       // 000000004A04: E05C1000 80865027
	v_mfma_f32_16x16x32_fp8_fp8 v[104:107], a[212:213], v[228:229], v[104:107]// 000000004A0C: D3F30068 0DA3C9D4
	v_mfma_f32_16x16x32_fp8_fp8 v[104:107], a[214:215], v[230:231], v[104:107]// 000000004A14: D3F30068 0DA3CDD6
	v_mfma_f32_16x16x32_fp8_fp8 v[104:107], a[216:217], v[232:233], v[104:107]// 000000004A1C: D3F30068 0DA3D1D8
	v_mfma_f32_16x16x32_fp8_fp8 v[104:107], a[218:219], v[234:235], v[104:107]// 000000004A24: D3F30068 0DA3D5DA
	buffer_load_dwordx4 a[84:87], v39, s[24:27], 0 offen offset:1024// 000000004A2C: E05C1400 80865427
	v_mfma_f32_16x16x32_fp8_fp8 v[104:107], a[220:221], v[236:237], v[104:107]// 000000004A34: D3F30068 0DA3D9DC
	v_mfma_f32_16x16x32_fp8_fp8 v[104:107], a[222:223], v[238:239], v[104:107]// 000000004A3C: D3F30068 0DA3DDDE
	v_mfma_f32_16x16x32_fp8_fp8 v[108:111], a[208:209], v[240:241], v[108:111]// 000000004A44: D3F3006C 0DB3E1D0
	v_mfma_f32_16x16x32_fp8_fp8 v[108:111], a[210:211], v[242:243], v[108:111]// 000000004A4C: D3F3006C 0DB3E5D2
	buffer_load_dwordx4 a[88:91], v39, s[24:27], 0 offen offset:2048// 000000004A54: E05C1800 80865827
	v_mfma_f32_16x16x32_fp8_fp8 v[108:111], a[212:213], v[244:245], v[108:111]// 000000004A5C: D3F3006C 0DB3E9D4
	v_mfma_f32_16x16x32_fp8_fp8 v[108:111], a[214:215], v[246:247], v[108:111]// 000000004A64: D3F3006C 0DB3EDD6
	v_mfma_f32_16x16x32_fp8_fp8 v[108:111], a[216:217], v[248:249], v[108:111]// 000000004A6C: D3F3006C 0DB3F1D8
	v_mfma_f32_16x16x32_fp8_fp8 v[108:111], a[218:219], v[250:251], v[108:111]// 000000004A74: D3F3006C 0DB3F5DA
	buffer_load_dwordx4 a[92:95], v39, s[24:27], 0 offen offset:3072// 000000004A7C: E05C1C00 80865C27
	v_mfma_f32_16x16x32_fp8_fp8 v[108:111], a[220:221], v[252:253], v[108:111]// 000000004A84: D3F3006C 0DB3F9DC
	v_mfma_f32_16x16x32_fp8_fp8 v[108:111], a[222:223], v[254:255], v[108:111]// 000000004A8C: D3F3006C 0DB3FDDE
	s_waitcnt vmcnt(28)                                        // 000000004A94: BF8C4F7C
	v_mfma_f32_16x16x32_fp8_fp8 v[112:115], a[224:225], v[224:225], v[112:115]// 000000004A98: D3F30070 0DC3C1E0
	v_mfma_f32_16x16x32_fp8_fp8 v[112:115], a[226:227], v[226:227], v[112:115]// 000000004AA0: D3F30070 0DC3C5E2
	buffer_load_dwordx4 a[96:99], v40, s[24:27], 0 offen       // 000000004AA8: E05C1000 80866028
	v_mfma_f32_16x16x32_fp8_fp8 v[112:115], a[228:229], v[228:229], v[112:115]// 000000004AB0: D3F30070 0DC3C9E4
	v_mfma_f32_16x16x32_fp8_fp8 v[112:115], a[230:231], v[230:231], v[112:115]// 000000004AB8: D3F30070 0DC3CDE6
	v_mfma_f32_16x16x32_fp8_fp8 v[112:115], a[232:233], v[232:233], v[112:115]// 000000004AC0: D3F30070 0DC3D1E8
	v_mfma_f32_16x16x32_fp8_fp8 v[112:115], a[234:235], v[234:235], v[112:115]// 000000004AC8: D3F30070 0DC3D5EA
	buffer_load_dwordx4 a[100:103], v40, s[24:27], 0 offen offset:1024// 000000004AD0: E05C1400 80866428
	v_mfma_f32_16x16x32_fp8_fp8 v[112:115], a[236:237], v[236:237], v[112:115]// 000000004AD8: D3F30070 0DC3D9EC
	v_mfma_f32_16x16x32_fp8_fp8 v[112:115], a[238:239], v[238:239], v[112:115]// 000000004AE0: D3F30070 0DC3DDEE
	v_mfma_f32_16x16x32_fp8_fp8 v[116:119], a[224:225], v[240:241], v[116:119]// 000000004AE8: D3F30074 0DD3E1E0
	v_mfma_f32_16x16x32_fp8_fp8 v[116:119], a[226:227], v[242:243], v[116:119]// 000000004AF0: D3F30074 0DD3E5E2
	buffer_load_dwordx4 a[104:107], v40, s[24:27], 0 offen offset:2048// 000000004AF8: E05C1800 80866828
	v_mfma_f32_16x16x32_fp8_fp8 v[116:119], a[228:229], v[244:245], v[116:119]// 000000004B00: D3F30074 0DD3E9E4
	v_mfma_f32_16x16x32_fp8_fp8 v[116:119], a[230:231], v[246:247], v[116:119]// 000000004B08: D3F30074 0DD3EDE6
	v_mfma_f32_16x16x32_fp8_fp8 v[116:119], a[232:233], v[248:249], v[116:119]// 000000004B10: D3F30074 0DD3F1E8
	v_mfma_f32_16x16x32_fp8_fp8 v[116:119], a[234:235], v[250:251], v[116:119]// 000000004B18: D3F30074 0DD3F5EA
	buffer_load_dwordx4 a[108:111], v40, s[24:27], 0 offen offset:3072// 000000004B20: E05C1C00 80866C28
	v_mfma_f32_16x16x32_fp8_fp8 v[116:119], a[236:237], v[252:253], v[116:119]// 000000004B28: D3F30074 0DD3F9EC
	v_mfma_f32_16x16x32_fp8_fp8 v[116:119], a[238:239], v[254:255], v[116:119]// 000000004B30: D3F30074 0DD3FDEE
	s_waitcnt vmcnt(28)                                        // 000000004B38: BF8C4F7C
	v_mfma_f32_16x16x32_fp8_fp8 v[120:123], a[240:241], v[224:225], v[120:123]// 000000004B3C: D3F30078 0DE3C1F0
	v_mfma_f32_16x16x32_fp8_fp8 v[120:123], a[242:243], v[226:227], v[120:123]// 000000004B44: D3F30078 0DE3C5F2
	buffer_load_dwordx4 a[112:115], v41, s[24:27], 0 offen     // 000000004B4C: E05C1000 80867029
	v_mfma_f32_16x16x32_fp8_fp8 v[120:123], a[244:245], v[228:229], v[120:123]// 000000004B54: D3F30078 0DE3C9F4
	v_mfma_f32_16x16x32_fp8_fp8 v[120:123], a[246:247], v[230:231], v[120:123]// 000000004B5C: D3F30078 0DE3CDF6
	v_mfma_f32_16x16x32_fp8_fp8 v[120:123], a[248:249], v[232:233], v[120:123]// 000000004B64: D3F30078 0DE3D1F8
	v_mfma_f32_16x16x32_fp8_fp8 v[120:123], a[250:251], v[234:235], v[120:123]// 000000004B6C: D3F30078 0DE3D5FA
	buffer_load_dwordx4 a[116:119], v41, s[24:27], 0 offen offset:1024// 000000004B74: E05C1400 80867429
	v_mfma_f32_16x16x32_fp8_fp8 v[120:123], a[252:253], v[236:237], v[120:123]// 000000004B7C: D3F30078 0DE3D9FC
	v_mfma_f32_16x16x32_fp8_fp8 v[120:123], a[254:255], v[238:239], v[120:123]// 000000004B84: D3F30078 0DE3DDFE
	v_mfma_f32_16x16x32_fp8_fp8 v[124:127], a[240:241], v[240:241], v[124:127]// 000000004B8C: D3F3007C 0DF3E1F0
	v_mfma_f32_16x16x32_fp8_fp8 v[124:127], a[242:243], v[242:243], v[124:127]// 000000004B94: D3F3007C 0DF3E5F2
	buffer_load_dwordx4 a[120:123], v41, s[24:27], 0 offen offset:2048// 000000004B9C: E05C1800 80867829
	v_mfma_f32_16x16x32_fp8_fp8 v[124:127], a[244:245], v[244:245], v[124:127]// 000000004BA4: D3F3007C 0DF3E9F4
	v_mfma_f32_16x16x32_fp8_fp8 v[124:127], a[246:247], v[246:247], v[124:127]// 000000004BAC: D3F3007C 0DF3EDF6
	v_mfma_f32_16x16x32_fp8_fp8 v[124:127], a[248:249], v[248:249], v[124:127]// 000000004BB4: D3F3007C 0DF3F1F8
	v_mfma_f32_16x16x32_fp8_fp8 v[124:127], a[250:251], v[250:251], v[124:127]// 000000004BBC: D3F3007C 0DF3F5FA
	buffer_load_dwordx4 a[124:127], v41, s[24:27], 0 offen offset:3072// 000000004BC4: E05C1C00 80867C29
	v_mfma_f32_16x16x32_fp8_fp8 v[124:127], a[252:253], v[252:253], v[124:127]// 000000004BCC: D3F3007C 0DF3F9FC
	v_mfma_f32_16x16x32_fp8_fp8 v[124:127], a[254:255], v[254:255], v[124:127]// 000000004BD4: D3F3007C 0DF3FDFE
	s_add_u32 s60, 0x200, s80                                  // 000000004BDC: 803C50FF 00000200
	s_cmp_lt_u32 s60, s81                                      // 000000004BE4: BF0A513C
	s_cselect_b32 s57, s57, 0                                  // 000000004BE8: 85398039
	s_add_u32 s60, 0x200, s80                                  // 000000004BEC: 803C50FF 00000200
	s_cmp_lt_u32 s60, s81                                      // 000000004BF4: BF0A513C
	s_cselect_b32 s58, s58, 0                                  // 000000004BF8: 853A803A
	s_add_u32 s20, s57, s20                                    // 000000004BFC: 80141439
	s_addc_u32 s21, 0, s21                                     // 000000004C00: 82151580
	s_add_u32 s24, s58, s24                                    // 000000004C04: 8018183A
	s_addc_u32 s25, 0, s25                                     // 000000004C08: 82191980
	s_add_u32 s92, s90, s92                                    // 000000004C0C: 805C5C5A
	s_addc_u32 s93, 0, s93                                     // 000000004C10: 825D5D80
	s_addk_i32 s80, 0x100                                      // 000000004C14: B7500100
	s_cmp_lt_i32 s80, s81                                      // 000000004C18: BF045150
	s_cbranch_scc0 label_0849                                  // 000000004C1C: BF840001
	s_branch label_02A8                                        // 000000004C20: BF82FA5F

0000000000004c24 <label_0849>:
	s_mov_b32 s36, -1                                          // 000000004C24: BEA400C1
	s_mov_b32 s37, -1                                          // 000000004C28: BEA500C1
	s_mov_b64 s[60:61], 0                                      // 000000004C2C: BEBC0180
	s_cmp_lt_u32 s82, s66                                      // 000000004C30: BF0A4252
	s_cselect_b64 s[20:21], s[36:37], s[60:61]                 // 000000004C34: 85943C24
	s_cmp_lt_u32 s83, s66                                      // 000000004C38: BF0A4253
	s_cselect_b64 s[22:23], s[36:37], s[60:61]                 // 000000004C3C: 85963C24
	s_cmp_lt_u32 s84, s66                                      // 000000004C40: BF0A4254
	s_cselect_b64 s[24:25], s[36:37], s[60:61]                 // 000000004C44: 85983C24
	s_cmp_lt_u32 s85, s66                                      // 000000004C48: BF0A4255
	s_cselect_b64 s[26:27], s[36:37], s[60:61]                 // 000000004C4C: 859A3C24
	s_cmp_lt_u32 s86, s66                                      // 000000004C50: BF0A4256
	s_cselect_b64 s[28:29], s[36:37], s[60:61]                 // 000000004C54: 859C3C24
	s_cmp_lt_u32 s87, s66                                      // 000000004C58: BF0A4257
	s_cselect_b64 s[30:31], s[36:37], s[60:61]                 // 000000004C5C: 859E3C24
	s_cmp_lt_u32 s88, s66                                      // 000000004C60: BF0A4258
	s_cselect_b64 s[32:33], s[36:37], s[60:61]                 // 000000004C64: 85A03C24
	s_cmp_lt_u32 s89, s66                                      // 000000004C68: BF0A4259
	s_cselect_b64 s[34:35], s[36:37], s[60:61]                 // 000000004C6C: 85A23C24
	v_mul_f32_e32 v128, v14, v128                              // 000000004C70: 0B01010E
	v_mul_f32_e32 v129, v14, v129                              // 000000004C74: 0B03030E
	v_mul_f32_e32 v130, v14, v130                              // 000000004C78: 0B05050E
	v_mul_f32_e32 v131, v14, v131                              // 000000004C7C: 0B07070E
	v_mul_f32_dpp v128, v16, v128 row_newbcast:0 row_mask:0xf bank_mask:0xf// 000000004C80: 0B0100FA FF015010
	v_mul_f32_dpp v129, v16, v129 row_newbcast:1 row_mask:0xf bank_mask:0xf// 000000004C88: 0B0302FA FF015110
	v_mul_f32_dpp v130, v16, v130 row_newbcast:2 row_mask:0xf bank_mask:0xf// 000000004C90: 0B0504FA FF015210
	v_mul_f32_dpp v131, v16, v131 row_newbcast:3 row_mask:0xf bank_mask:0xf// 000000004C98: 0B0706FA FF015310
	v_mul_f32_e32 v132, v15, v132                              // 000000004CA0: 0B09090F
	v_mul_f32_e32 v133, v15, v133                              // 000000004CA4: 0B0B0B0F
	v_mul_f32_e32 v134, v15, v134                              // 000000004CA8: 0B0D0D0F
	v_mul_f32_e32 v135, v15, v135                              // 000000004CAC: 0B0F0F0F
	v_mul_f32_dpp v132, v16, v132 row_newbcast:0 row_mask:0xf bank_mask:0xf// 000000004CB0: 0B0908FA FF015010
	v_mul_f32_dpp v133, v16, v133 row_newbcast:1 row_mask:0xf bank_mask:0xf// 000000004CB8: 0B0B0AFA FF015110
	v_mul_f32_dpp v134, v16, v134 row_newbcast:2 row_mask:0xf bank_mask:0xf// 000000004CC0: 0B0D0CFA FF015210
	v_mul_f32_dpp v135, v16, v135 row_newbcast:3 row_mask:0xf bank_mask:0xf// 000000004CC8: 0B0F0EFA FF015310
	v_mul_f32_e32 v136, v14, v136                              // 000000004CD0: 0B11110E
	v_mul_f32_e32 v137, v14, v137                              // 000000004CD4: 0B13130E
	v_mul_f32_e32 v138, v14, v138                              // 000000004CD8: 0B15150E
	v_mul_f32_e32 v139, v14, v139                              // 000000004CDC: 0B17170E
	v_mul_f32_dpp v136, v16, v136 row_newbcast:4 row_mask:0xf bank_mask:0xf// 000000004CE0: 0B1110FA FF015410
	v_mul_f32_dpp v137, v16, v137 row_newbcast:5 row_mask:0xf bank_mask:0xf// 000000004CE8: 0B1312FA FF015510
	v_mul_f32_dpp v138, v16, v138 row_newbcast:6 row_mask:0xf bank_mask:0xf// 000000004CF0: 0B1514FA FF015610
	v_mul_f32_dpp v139, v16, v139 row_newbcast:7 row_mask:0xf bank_mask:0xf// 000000004CF8: 0B1716FA FF015710
	v_mul_f32_e32 v140, v15, v140                              // 000000004D00: 0B19190F
	v_mul_f32_e32 v141, v15, v141                              // 000000004D04: 0B1B1B0F
	v_mul_f32_e32 v142, v15, v142                              // 000000004D08: 0B1D1D0F
	v_mul_f32_e32 v143, v15, v143                              // 000000004D0C: 0B1F1F0F
	v_mul_f32_dpp v140, v16, v140 row_newbcast:4 row_mask:0xf bank_mask:0xf// 000000004D10: 0B1918FA FF015410
	v_mul_f32_dpp v141, v16, v141 row_newbcast:5 row_mask:0xf bank_mask:0xf// 000000004D18: 0B1B1AFA FF015510
	v_mul_f32_dpp v142, v16, v142 row_newbcast:6 row_mask:0xf bank_mask:0xf// 000000004D20: 0B1D1CFA FF015610
	v_mul_f32_dpp v143, v16, v143 row_newbcast:7 row_mask:0xf bank_mask:0xf// 000000004D28: 0B1F1EFA FF015710
	v_mul_f32_e32 v144, v14, v144                              // 000000004D30: 0B21210E
	v_mul_f32_e32 v145, v14, v145                              // 000000004D34: 0B23230E
	v_mul_f32_e32 v146, v14, v146                              // 000000004D38: 0B25250E
	v_mul_f32_e32 v147, v14, v147                              // 000000004D3C: 0B27270E
	v_mul_f32_dpp v144, v16, v144 row_newbcast:8 row_mask:0xf bank_mask:0xf// 000000004D40: 0B2120FA FF015810
	v_mul_f32_dpp v145, v16, v145 row_newbcast:9 row_mask:0xf bank_mask:0xf// 000000004D48: 0B2322FA FF015910
	v_mul_f32_dpp v146, v16, v146 row_newbcast:10 row_mask:0xf bank_mask:0xf// 000000004D50: 0B2524FA FF015A10
	v_mul_f32_dpp v147, v16, v147 row_newbcast:11 row_mask:0xf bank_mask:0xf// 000000004D58: 0B2726FA FF015B10
	v_mul_f32_e32 v148, v15, v148                              // 000000004D60: 0B29290F
	v_mul_f32_e32 v149, v15, v149                              // 000000004D64: 0B2B2B0F
	v_mul_f32_e32 v150, v15, v150                              // 000000004D68: 0B2D2D0F
	v_mul_f32_e32 v151, v15, v151                              // 000000004D6C: 0B2F2F0F
	v_mul_f32_dpp v148, v16, v148 row_newbcast:8 row_mask:0xf bank_mask:0xf// 000000004D70: 0B2928FA FF015810
	v_mul_f32_dpp v149, v16, v149 row_newbcast:9 row_mask:0xf bank_mask:0xf// 000000004D78: 0B2B2AFA FF015910
	v_mul_f32_dpp v150, v16, v150 row_newbcast:10 row_mask:0xf bank_mask:0xf// 000000004D80: 0B2D2CFA FF015A10
	v_mul_f32_dpp v151, v16, v151 row_newbcast:11 row_mask:0xf bank_mask:0xf// 000000004D88: 0B2F2EFA FF015B10
	v_mul_f32_e32 v152, v14, v152                              // 000000004D90: 0B31310E
	v_mul_f32_e32 v153, v14, v153                              // 000000004D94: 0B33330E
	v_mul_f32_e32 v154, v14, v154                              // 000000004D98: 0B35350E
	v_mul_f32_e32 v155, v14, v155                              // 000000004D9C: 0B37370E
	v_mul_f32_dpp v152, v16, v152 row_newbcast:12 row_mask:0xf bank_mask:0xf// 000000004DA0: 0B3130FA FF015C10
	v_mul_f32_dpp v153, v16, v153 row_newbcast:13 row_mask:0xf bank_mask:0xf// 000000004DA8: 0B3332FA FF015D10
	v_mul_f32_dpp v154, v16, v154 row_newbcast:14 row_mask:0xf bank_mask:0xf// 000000004DB0: 0B3534FA FF015E10
	v_mul_f32_dpp v155, v16, v155 row_newbcast:15 row_mask:0xf bank_mask:0xf// 000000004DB8: 0B3736FA FF015F10
	v_mul_f32_e32 v156, v15, v156                              // 000000004DC0: 0B39390F
	v_mul_f32_e32 v157, v15, v157                              // 000000004DC4: 0B3B3B0F
	v_mul_f32_e32 v158, v15, v158                              // 000000004DC8: 0B3D3D0F
	v_mul_f32_e32 v159, v15, v159                              // 000000004DCC: 0B3F3F0F
	v_mul_f32_dpp v156, v16, v156 row_newbcast:12 row_mask:0xf bank_mask:0xf// 000000004DD0: 0B3938FA FF015C10
	v_mul_f32_dpp v157, v16, v157 row_newbcast:13 row_mask:0xf bank_mask:0xf// 000000004DD8: 0B3B3AFA FF015D10
	v_mul_f32_dpp v158, v16, v158 row_newbcast:14 row_mask:0xf bank_mask:0xf// 000000004DE0: 0B3D3CFA FF015E10
	v_mul_f32_dpp v159, v16, v159 row_newbcast:15 row_mask:0xf bank_mask:0xf// 000000004DE8: 0B3F3EFA FF015F10
	v_mul_f32_e32 v160, v14, v160                              // 000000004DF0: 0B41410E
	v_mul_f32_e32 v161, v14, v161                              // 000000004DF4: 0B43430E
	v_mul_f32_e32 v162, v14, v162                              // 000000004DF8: 0B45450E
	v_mul_f32_e32 v163, v14, v163                              // 000000004DFC: 0B47470E
	v_mul_f32_dpp v160, v17, v160 row_newbcast:0 row_mask:0xf bank_mask:0xf// 000000004E00: 0B4140FA FF015011
	v_mul_f32_dpp v161, v17, v161 row_newbcast:1 row_mask:0xf bank_mask:0xf// 000000004E08: 0B4342FA FF015111
	v_mul_f32_dpp v162, v17, v162 row_newbcast:2 row_mask:0xf bank_mask:0xf// 000000004E10: 0B4544FA FF015211
	v_mul_f32_dpp v163, v17, v163 row_newbcast:3 row_mask:0xf bank_mask:0xf// 000000004E18: 0B4746FA FF015311
	v_mul_f32_e32 v164, v15, v164                              // 000000004E20: 0B49490F
	v_mul_f32_e32 v165, v15, v165                              // 000000004E24: 0B4B4B0F
	v_mul_f32_e32 v166, v15, v166                              // 000000004E28: 0B4D4D0F
	v_mul_f32_e32 v167, v15, v167                              // 000000004E2C: 0B4F4F0F
	v_mul_f32_dpp v164, v17, v164 row_newbcast:0 row_mask:0xf bank_mask:0xf// 000000004E30: 0B4948FA FF015011
	v_mul_f32_dpp v165, v17, v165 row_newbcast:1 row_mask:0xf bank_mask:0xf// 000000004E38: 0B4B4AFA FF015111
	v_mul_f32_dpp v166, v17, v166 row_newbcast:2 row_mask:0xf bank_mask:0xf// 000000004E40: 0B4D4CFA FF015211
	v_mul_f32_dpp v167, v17, v167 row_newbcast:3 row_mask:0xf bank_mask:0xf// 000000004E48: 0B4F4EFA FF015311
	v_mul_f32_e32 v168, v14, v168                              // 000000004E50: 0B51510E
	v_mul_f32_e32 v169, v14, v169                              // 000000004E54: 0B53530E
	v_mul_f32_e32 v170, v14, v170                              // 000000004E58: 0B55550E
	v_mul_f32_e32 v171, v14, v171                              // 000000004E5C: 0B57570E
	v_mul_f32_dpp v168, v17, v168 row_newbcast:4 row_mask:0xf bank_mask:0xf// 000000004E60: 0B5150FA FF015411
	v_mul_f32_dpp v169, v17, v169 row_newbcast:5 row_mask:0xf bank_mask:0xf// 000000004E68: 0B5352FA FF015511
	v_mul_f32_dpp v170, v17, v170 row_newbcast:6 row_mask:0xf bank_mask:0xf// 000000004E70: 0B5554FA FF015611
	v_mul_f32_dpp v171, v17, v171 row_newbcast:7 row_mask:0xf bank_mask:0xf// 000000004E78: 0B5756FA FF015711
	v_mul_f32_e32 v172, v15, v172                              // 000000004E80: 0B59590F
	v_mul_f32_e32 v173, v15, v173                              // 000000004E84: 0B5B5B0F
	v_mul_f32_e32 v174, v15, v174                              // 000000004E88: 0B5D5D0F
	v_mul_f32_e32 v175, v15, v175                              // 000000004E8C: 0B5F5F0F
	v_mul_f32_dpp v172, v17, v172 row_newbcast:4 row_mask:0xf bank_mask:0xf// 000000004E90: 0B5958FA FF015411
	v_mul_f32_dpp v173, v17, v173 row_newbcast:5 row_mask:0xf bank_mask:0xf// 000000004E98: 0B5B5AFA FF015511
	v_mul_f32_dpp v174, v17, v174 row_newbcast:6 row_mask:0xf bank_mask:0xf// 000000004EA0: 0B5D5CFA FF015611
	v_mul_f32_dpp v175, v17, v175 row_newbcast:7 row_mask:0xf bank_mask:0xf// 000000004EA8: 0B5F5EFA FF015711
	v_mul_f32_e32 v176, v14, v176                              // 000000004EB0: 0B61610E
	v_mul_f32_e32 v177, v14, v177                              // 000000004EB4: 0B63630E
	v_mul_f32_e32 v178, v14, v178                              // 000000004EB8: 0B65650E
	v_mul_f32_e32 v179, v14, v179                              // 000000004EBC: 0B67670E
	v_mul_f32_dpp v176, v17, v176 row_newbcast:8 row_mask:0xf bank_mask:0xf// 000000004EC0: 0B6160FA FF015811
	v_mul_f32_dpp v177, v17, v177 row_newbcast:9 row_mask:0xf bank_mask:0xf// 000000004EC8: 0B6362FA FF015911
	v_mul_f32_dpp v178, v17, v178 row_newbcast:10 row_mask:0xf bank_mask:0xf// 000000004ED0: 0B6564FA FF015A11
	v_mul_f32_dpp v179, v17, v179 row_newbcast:11 row_mask:0xf bank_mask:0xf// 000000004ED8: 0B6766FA FF015B11
	v_mul_f32_e32 v180, v15, v180                              // 000000004EE0: 0B69690F
	v_mul_f32_e32 v181, v15, v181                              // 000000004EE4: 0B6B6B0F
	v_mul_f32_e32 v182, v15, v182                              // 000000004EE8: 0B6D6D0F
	v_mul_f32_e32 v183, v15, v183                              // 000000004EEC: 0B6F6F0F
	v_mul_f32_dpp v180, v17, v180 row_newbcast:8 row_mask:0xf bank_mask:0xf// 000000004EF0: 0B6968FA FF015811
	v_mul_f32_dpp v181, v17, v181 row_newbcast:9 row_mask:0xf bank_mask:0xf// 000000004EF8: 0B6B6AFA FF015911
	v_mul_f32_dpp v182, v17, v182 row_newbcast:10 row_mask:0xf bank_mask:0xf// 000000004F00: 0B6D6CFA FF015A11
	v_mul_f32_dpp v183, v17, v183 row_newbcast:11 row_mask:0xf bank_mask:0xf// 000000004F08: 0B6F6EFA FF015B11
	v_mul_f32_e32 v184, v14, v184                              // 000000004F10: 0B71710E
	v_mul_f32_e32 v185, v14, v185                              // 000000004F14: 0B73730E
	v_mul_f32_e32 v186, v14, v186                              // 000000004F18: 0B75750E
	v_mul_f32_e32 v187, v14, v187                              // 000000004F1C: 0B77770E
	v_mul_f32_dpp v184, v17, v184 row_newbcast:12 row_mask:0xf bank_mask:0xf// 000000004F20: 0B7170FA FF015C11
	v_mul_f32_dpp v185, v17, v185 row_newbcast:13 row_mask:0xf bank_mask:0xf// 000000004F28: 0B7372FA FF015D11
	v_mul_f32_dpp v186, v17, v186 row_newbcast:14 row_mask:0xf bank_mask:0xf// 000000004F30: 0B7574FA FF015E11
	v_mul_f32_dpp v187, v17, v187 row_newbcast:15 row_mask:0xf bank_mask:0xf// 000000004F38: 0B7776FA FF015F11
	v_mul_f32_e32 v188, v15, v188                              // 000000004F40: 0B79790F
	v_mul_f32_e32 v189, v15, v189                              // 000000004F44: 0B7B7B0F
	v_mul_f32_e32 v190, v15, v190                              // 000000004F48: 0B7D7D0F
	v_mul_f32_e32 v191, v15, v191                              // 000000004F4C: 0B7F7F0F
	v_mul_f32_dpp v188, v17, v188 row_newbcast:12 row_mask:0xf bank_mask:0xf// 000000004F50: 0B7978FA FF015C11
	v_mul_f32_dpp v189, v17, v189 row_newbcast:13 row_mask:0xf bank_mask:0xf// 000000004F58: 0B7B7AFA FF015D11
	v_mul_f32_dpp v190, v17, v190 row_newbcast:14 row_mask:0xf bank_mask:0xf// 000000004F60: 0B7D7CFA FF015E11
	v_mul_f32_dpp v191, v17, v191 row_newbcast:15 row_mask:0xf bank_mask:0xf// 000000004F68: 0B7F7EFA FF015F11
	v_mul_f32_e32 v64, v14, v64                                // 000000004F70: 0A80810E
	v_mul_f32_e32 v65, v14, v65                                // 000000004F74: 0A82830E
	v_mul_f32_e32 v66, v14, v66                                // 000000004F78: 0A84850E
	v_mul_f32_e32 v67, v14, v67                                // 000000004F7C: 0A86870E
	v_mul_f32_dpp v64, v50, v64 row_newbcast:0 row_mask:0xf bank_mask:0xf// 000000004F80: 0A8080FA FF015032
	v_mul_f32_dpp v65, v50, v65 row_newbcast:1 row_mask:0xf bank_mask:0xf// 000000004F88: 0A8282FA FF015132
	v_mul_f32_dpp v66, v50, v66 row_newbcast:2 row_mask:0xf bank_mask:0xf// 000000004F90: 0A8484FA FF015232
	v_mul_f32_dpp v67, v50, v67 row_newbcast:3 row_mask:0xf bank_mask:0xf// 000000004F98: 0A8686FA FF015332
	v_mul_f32_e32 v68, v15, v68                                // 000000004FA0: 0A88890F
	v_mul_f32_e32 v69, v15, v69                                // 000000004FA4: 0A8A8B0F
	v_mul_f32_e32 v70, v15, v70                                // 000000004FA8: 0A8C8D0F
	v_mul_f32_e32 v71, v15, v71                                // 000000004FAC: 0A8E8F0F
	v_mul_f32_dpp v68, v50, v68 row_newbcast:0 row_mask:0xf bank_mask:0xf// 000000004FB0: 0A8888FA FF015032
	v_mul_f32_dpp v69, v50, v69 row_newbcast:1 row_mask:0xf bank_mask:0xf// 000000004FB8: 0A8A8AFA FF015132
	v_mul_f32_dpp v70, v50, v70 row_newbcast:2 row_mask:0xf bank_mask:0xf// 000000004FC0: 0A8C8CFA FF015232
	v_mul_f32_dpp v71, v50, v71 row_newbcast:3 row_mask:0xf bank_mask:0xf// 000000004FC8: 0A8E8EFA FF015332
	v_mul_f32_e32 v72, v14, v72                                // 000000004FD0: 0A90910E
	v_mul_f32_e32 v73, v14, v73                                // 000000004FD4: 0A92930E
	v_mul_f32_e32 v74, v14, v74                                // 000000004FD8: 0A94950E
	v_mul_f32_e32 v75, v14, v75                                // 000000004FDC: 0A96970E
	v_mul_f32_dpp v72, v50, v72 row_newbcast:4 row_mask:0xf bank_mask:0xf// 000000004FE0: 0A9090FA FF015432
	v_mul_f32_dpp v73, v50, v73 row_newbcast:5 row_mask:0xf bank_mask:0xf// 000000004FE8: 0A9292FA FF015532
	v_mul_f32_dpp v74, v50, v74 row_newbcast:6 row_mask:0xf bank_mask:0xf// 000000004FF0: 0A9494FA FF015632
	v_mul_f32_dpp v75, v50, v75 row_newbcast:7 row_mask:0xf bank_mask:0xf// 000000004FF8: 0A9696FA FF015732
	v_mul_f32_e32 v76, v15, v76                                // 000000005000: 0A98990F
	v_mul_f32_e32 v77, v15, v77                                // 000000005004: 0A9A9B0F
	v_mul_f32_e32 v78, v15, v78                                // 000000005008: 0A9C9D0F
	v_mul_f32_e32 v79, v15, v79                                // 00000000500C: 0A9E9F0F
	v_mul_f32_dpp v76, v50, v76 row_newbcast:4 row_mask:0xf bank_mask:0xf// 000000005010: 0A9898FA FF015432
	v_mul_f32_dpp v77, v50, v77 row_newbcast:5 row_mask:0xf bank_mask:0xf// 000000005018: 0A9A9AFA FF015532
	v_mul_f32_dpp v78, v50, v78 row_newbcast:6 row_mask:0xf bank_mask:0xf// 000000005020: 0A9C9CFA FF015632
	v_mul_f32_dpp v79, v50, v79 row_newbcast:7 row_mask:0xf bank_mask:0xf// 000000005028: 0A9E9EFA FF015732
	v_mul_f32_e32 v80, v14, v80                                // 000000005030: 0AA0A10E
	v_mul_f32_e32 v81, v14, v81                                // 000000005034: 0AA2A30E
	v_mul_f32_e32 v82, v14, v82                                // 000000005038: 0AA4A50E
	v_mul_f32_e32 v83, v14, v83                                // 00000000503C: 0AA6A70E
	v_mul_f32_dpp v80, v50, v80 row_newbcast:8 row_mask:0xf bank_mask:0xf// 000000005040: 0AA0A0FA FF015832
	v_mul_f32_dpp v81, v50, v81 row_newbcast:9 row_mask:0xf bank_mask:0xf// 000000005048: 0AA2A2FA FF015932
	v_mul_f32_dpp v82, v50, v82 row_newbcast:10 row_mask:0xf bank_mask:0xf// 000000005050: 0AA4A4FA FF015A32
	v_mul_f32_dpp v83, v50, v83 row_newbcast:11 row_mask:0xf bank_mask:0xf// 000000005058: 0AA6A6FA FF015B32
	v_mul_f32_e32 v84, v15, v84                                // 000000005060: 0AA8A90F
	v_mul_f32_e32 v85, v15, v85                                // 000000005064: 0AAAAB0F
	v_mul_f32_e32 v86, v15, v86                                // 000000005068: 0AACAD0F
	v_mul_f32_e32 v87, v15, v87                                // 00000000506C: 0AAEAF0F
	v_mul_f32_dpp v84, v50, v84 row_newbcast:8 row_mask:0xf bank_mask:0xf// 000000005070: 0AA8A8FA FF015832
	v_mul_f32_dpp v85, v50, v85 row_newbcast:9 row_mask:0xf bank_mask:0xf// 000000005078: 0AAAAAFA FF015932
	v_mul_f32_dpp v86, v50, v86 row_newbcast:10 row_mask:0xf bank_mask:0xf// 000000005080: 0AACACFA FF015A32
	v_mul_f32_dpp v87, v50, v87 row_newbcast:11 row_mask:0xf bank_mask:0xf// 000000005088: 0AAEAEFA FF015B32
	v_mul_f32_e32 v88, v14, v88                                // 000000005090: 0AB0B10E
	v_mul_f32_e32 v89, v14, v89                                // 000000005094: 0AB2B30E
	v_mul_f32_e32 v90, v14, v90                                // 000000005098: 0AB4B50E
	v_mul_f32_e32 v91, v14, v91                                // 00000000509C: 0AB6B70E
	v_mul_f32_dpp v88, v50, v88 row_newbcast:12 row_mask:0xf bank_mask:0xf// 0000000050A0: 0AB0B0FA FF015C32
	v_mul_f32_dpp v89, v50, v89 row_newbcast:13 row_mask:0xf bank_mask:0xf// 0000000050A8: 0AB2B2FA FF015D32
	v_mul_f32_dpp v90, v50, v90 row_newbcast:14 row_mask:0xf bank_mask:0xf// 0000000050B0: 0AB4B4FA FF015E32
	v_mul_f32_dpp v91, v50, v91 row_newbcast:15 row_mask:0xf bank_mask:0xf// 0000000050B8: 0AB6B6FA FF015F32
	v_mul_f32_e32 v92, v15, v92                                // 0000000050C0: 0AB8B90F
	v_mul_f32_e32 v93, v15, v93                                // 0000000050C4: 0ABABB0F
	v_mul_f32_e32 v94, v15, v94                                // 0000000050C8: 0ABCBD0F
	v_mul_f32_e32 v95, v15, v95                                // 0000000050CC: 0ABEBF0F
	v_mul_f32_dpp v92, v50, v92 row_newbcast:12 row_mask:0xf bank_mask:0xf// 0000000050D0: 0AB8B8FA FF015C32
	v_mul_f32_dpp v93, v50, v93 row_newbcast:13 row_mask:0xf bank_mask:0xf// 0000000050D8: 0ABABAFA FF015D32
	v_mul_f32_dpp v94, v50, v94 row_newbcast:14 row_mask:0xf bank_mask:0xf// 0000000050E0: 0ABCBCFA FF015E32
	v_mul_f32_dpp v95, v50, v95 row_newbcast:15 row_mask:0xf bank_mask:0xf// 0000000050E8: 0ABEBEFA FF015F32
	v_mul_f32_e32 v96, v14, v96                                // 0000000050F0: 0AC0C10E
	v_mul_f32_e32 v97, v14, v97                                // 0000000050F4: 0AC2C30E
	v_mul_f32_e32 v98, v14, v98                                // 0000000050F8: 0AC4C50E
	v_mul_f32_e32 v99, v14, v99                                // 0000000050FC: 0AC6C70E
	v_mul_f32_dpp v96, v51, v96 row_newbcast:0 row_mask:0xf bank_mask:0xf// 000000005100: 0AC0C0FA FF015033
	v_mul_f32_dpp v97, v51, v97 row_newbcast:1 row_mask:0xf bank_mask:0xf// 000000005108: 0AC2C2FA FF015133
	v_mul_f32_dpp v98, v51, v98 row_newbcast:2 row_mask:0xf bank_mask:0xf// 000000005110: 0AC4C4FA FF015233
	v_mul_f32_dpp v99, v51, v99 row_newbcast:3 row_mask:0xf bank_mask:0xf// 000000005118: 0AC6C6FA FF015333
	v_mul_f32_e32 v100, v15, v100                              // 000000005120: 0AC8C90F
	v_mul_f32_e32 v101, v15, v101                              // 000000005124: 0ACACB0F
	v_mul_f32_e32 v102, v15, v102                              // 000000005128: 0ACCCD0F
	v_mul_f32_e32 v103, v15, v103                              // 00000000512C: 0ACECF0F
	v_mul_f32_dpp v100, v51, v100 row_newbcast:0 row_mask:0xf bank_mask:0xf// 000000005130: 0AC8C8FA FF015033
	v_mul_f32_dpp v101, v51, v101 row_newbcast:1 row_mask:0xf bank_mask:0xf// 000000005138: 0ACACAFA FF015133
	v_mul_f32_dpp v102, v51, v102 row_newbcast:2 row_mask:0xf bank_mask:0xf// 000000005140: 0ACCCCFA FF015233
	v_mul_f32_dpp v103, v51, v103 row_newbcast:3 row_mask:0xf bank_mask:0xf// 000000005148: 0ACECEFA FF015333
	v_mul_f32_e32 v104, v14, v104                              // 000000005150: 0AD0D10E
	v_mul_f32_e32 v105, v14, v105                              // 000000005154: 0AD2D30E
	v_mul_f32_e32 v106, v14, v106                              // 000000005158: 0AD4D50E
	v_mul_f32_e32 v107, v14, v107                              // 00000000515C: 0AD6D70E
	v_mul_f32_dpp v104, v51, v104 row_newbcast:4 row_mask:0xf bank_mask:0xf// 000000005160: 0AD0D0FA FF015433
	v_mul_f32_dpp v105, v51, v105 row_newbcast:5 row_mask:0xf bank_mask:0xf// 000000005168: 0AD2D2FA FF015533
	v_mul_f32_dpp v106, v51, v106 row_newbcast:6 row_mask:0xf bank_mask:0xf// 000000005170: 0AD4D4FA FF015633
	v_mul_f32_dpp v107, v51, v107 row_newbcast:7 row_mask:0xf bank_mask:0xf// 000000005178: 0AD6D6FA FF015733
	v_mul_f32_e32 v108, v15, v108                              // 000000005180: 0AD8D90F
	v_mul_f32_e32 v109, v15, v109                              // 000000005184: 0ADADB0F
	v_mul_f32_e32 v110, v15, v110                              // 000000005188: 0ADCDD0F
	v_mul_f32_e32 v111, v15, v111                              // 00000000518C: 0ADEDF0F
	v_mul_f32_dpp v108, v51, v108 row_newbcast:4 row_mask:0xf bank_mask:0xf// 000000005190: 0AD8D8FA FF015433
	v_mul_f32_dpp v109, v51, v109 row_newbcast:5 row_mask:0xf bank_mask:0xf// 000000005198: 0ADADAFA FF015533
	v_mul_f32_dpp v110, v51, v110 row_newbcast:6 row_mask:0xf bank_mask:0xf// 0000000051A0: 0ADCDCFA FF015633
	v_mul_f32_dpp v111, v51, v111 row_newbcast:7 row_mask:0xf bank_mask:0xf// 0000000051A8: 0ADEDEFA FF015733
	v_mul_f32_e32 v112, v14, v112                              // 0000000051B0: 0AE0E10E
	v_mul_f32_e32 v113, v14, v113                              // 0000000051B4: 0AE2E30E
	v_mul_f32_e32 v114, v14, v114                              // 0000000051B8: 0AE4E50E
	v_mul_f32_e32 v115, v14, v115                              // 0000000051BC: 0AE6E70E
	v_mul_f32_dpp v112, v51, v112 row_newbcast:8 row_mask:0xf bank_mask:0xf// 0000000051C0: 0AE0E0FA FF015833
	v_mul_f32_dpp v113, v51, v113 row_newbcast:9 row_mask:0xf bank_mask:0xf// 0000000051C8: 0AE2E2FA FF015933
	v_mul_f32_dpp v114, v51, v114 row_newbcast:10 row_mask:0xf bank_mask:0xf// 0000000051D0: 0AE4E4FA FF015A33
	v_mul_f32_dpp v115, v51, v115 row_newbcast:11 row_mask:0xf bank_mask:0xf// 0000000051D8: 0AE6E6FA FF015B33
	v_mul_f32_e32 v116, v15, v116                              // 0000000051E0: 0AE8E90F
	v_mul_f32_e32 v117, v15, v117                              // 0000000051E4: 0AEAEB0F
	v_mul_f32_e32 v118, v15, v118                              // 0000000051E8: 0AECED0F
	v_mul_f32_e32 v119, v15, v119                              // 0000000051EC: 0AEEEF0F
	v_mul_f32_dpp v116, v51, v116 row_newbcast:8 row_mask:0xf bank_mask:0xf// 0000000051F0: 0AE8E8FA FF015833
	v_mul_f32_dpp v117, v51, v117 row_newbcast:9 row_mask:0xf bank_mask:0xf// 0000000051F8: 0AEAEAFA FF015933
	v_mul_f32_dpp v118, v51, v118 row_newbcast:10 row_mask:0xf bank_mask:0xf// 000000005200: 0AECECFA FF015A33
	v_mul_f32_dpp v119, v51, v119 row_newbcast:11 row_mask:0xf bank_mask:0xf// 000000005208: 0AEEEEFA FF015B33
	v_mul_f32_e32 v120, v14, v120                              // 000000005210: 0AF0F10E
	v_mul_f32_e32 v121, v14, v121                              // 000000005214: 0AF2F30E
	v_mul_f32_e32 v122, v14, v122                              // 000000005218: 0AF4F50E
	v_mul_f32_e32 v123, v14, v123                              // 00000000521C: 0AF6F70E
	v_mul_f32_dpp v120, v51, v120 row_newbcast:12 row_mask:0xf bank_mask:0xf// 000000005220: 0AF0F0FA FF015C33
	v_mul_f32_dpp v121, v51, v121 row_newbcast:13 row_mask:0xf bank_mask:0xf// 000000005228: 0AF2F2FA FF015D33
	v_mul_f32_dpp v122, v51, v122 row_newbcast:14 row_mask:0xf bank_mask:0xf// 000000005230: 0AF4F4FA FF015E33
	v_mul_f32_dpp v123, v51, v123 row_newbcast:15 row_mask:0xf bank_mask:0xf// 000000005238: 0AF6F6FA FF015F33
	v_mul_f32_e32 v124, v15, v124                              // 000000005240: 0AF8F90F
	v_mul_f32_e32 v125, v15, v125                              // 000000005244: 0AFAFB0F
	v_mul_f32_e32 v126, v15, v126                              // 000000005248: 0AFCFD0F
	v_mul_f32_e32 v127, v15, v127                              // 00000000524C: 0AFEFF0F
	v_mul_f32_dpp v124, v51, v124 row_newbcast:12 row_mask:0xf bank_mask:0xf// 000000005250: 0AF8F8FA FF015C33
	v_mul_f32_dpp v125, v51, v125 row_newbcast:13 row_mask:0xf bank_mask:0xf// 000000005258: 0AFAFAFA FF015D33
	v_mul_f32_dpp v126, v51, v126 row_newbcast:14 row_mask:0xf bank_mask:0xf// 000000005260: 0AFCFCFA FF015E33
	v_mul_f32_dpp v127, v51, v127 row_newbcast:15 row_mask:0xf bank_mask:0xf// 000000005268: 0AFEFEFA FF015F33
	s_waitcnt vmcnt(28)                                        // 000000005270: BF8C4F7C
	buffer_load_dwordx4 a[0:3], v42, s[12:15], 0 offen         // 000000005274: E05C1000 8083002A
	v_mul_f32_e64 v52, -v128, s6                               // 00000000527C: D1050034 20000D80
	v_mul_f32_e64 v53, -v129, s6                               // 000000005284: D1050035 20000D81
	v_mul_f32_e64 v54, -v130, s6                               // 00000000528C: D1050036 20000D82
	v_mul_f32_e64 v55, -v131, s6                               // 000000005294: D1050037 20000D83
	v_exp_f32_e32 v52, v52                                     // 00000000529C: 7E684134
	v_exp_f32_e32 v53, v53                                     // 0000000052A0: 7E6A4135
	v_exp_f32_e32 v54, v54                                     // 0000000052A4: 7E6C4136
	v_exp_f32_e32 v55, v55                                     // 0000000052A8: 7E6E4137
	buffer_load_dwordx4 a[4:7], v43, s[12:15], 0 offen         // 0000000052AC: E05C1000 8083042B
	v_add_f32_e64 v52, v52, 1.0                                // 0000000052B4: D1010034 0001E534
	v_add_f32_e64 v53, v53, 1.0                                // 0000000052BC: D1010035 0001E535
	v_add_f32_e64 v54, v54, 1.0                                // 0000000052C4: D1010036 0001E536
	v_add_f32_e64 v55, v55, 1.0                                // 0000000052CC: D1010037 0001E537
	v_rcp_f32_e32 v52, v52                                     // 0000000052D4: 7E684534
	v_rcp_f32_e32 v53, v53                                     // 0000000052D8: 7E6A4535
	v_rcp_f32_e32 v54, v54                                     // 0000000052DC: 7E6C4536
	v_rcp_f32_e32 v55, v55                                     // 0000000052E0: 7E6E4537
	v_mul_f32_e32 v128, v128, v52                              // 0000000052E4: 0B006980
	v_mul_f32_e32 v129, v129, v53                              // 0000000052E8: 0B026B81
	v_mul_f32_e32 v130, v130, v54                              // 0000000052EC: 0B046D82
	v_mul_f32_e32 v131, v131, v55                              // 0000000052F0: 0B066F83
	v_mul_f32_e32 v128, v128, v64                              // 0000000052F4: 0B008180
	v_mul_f32_e32 v129, v129, v65                              // 0000000052F8: 0B028381
	v_mul_f32_e32 v130, v130, v66                              // 0000000052FC: 0B048582
	v_mul_f32_e32 v131, v131, v67                              // 000000005300: 0B068783
	buffer_load_dwordx4 a[8:11], v44, s[12:15], 0 offen        // 000000005304: E05C1000 8083082C
	v_mul_f32_e64 v52, -v132, s6                               // 00000000530C: D1050034 20000D84
	v_mul_f32_e64 v53, -v133, s6                               // 000000005314: D1050035 20000D85
	v_mul_f32_e64 v54, -v134, s6                               // 00000000531C: D1050036 20000D86
	v_mul_f32_e64 v55, -v135, s6                               // 000000005324: D1050037 20000D87
	v_exp_f32_e32 v52, v52                                     // 00000000532C: 7E684134
	v_exp_f32_e32 v53, v53                                     // 000000005330: 7E6A4135
	v_exp_f32_e32 v54, v54                                     // 000000005334: 7E6C4136
	v_exp_f32_e32 v55, v55                                     // 000000005338: 7E6E4137
	buffer_load_dwordx4 a[12:15], v45, s[12:15], 0 offen       // 00000000533C: E05C1000 80830C2D
	s_add_u32 s12, s78, s12                                    // 000000005344: 800C0C4E
	s_addc_u32 s13, 0, s13                                     // 000000005348: 820D0D80
	v_add_f32_e64 v52, v52, 1.0                                // 00000000534C: D1010034 0001E534
	v_add_f32_e64 v53, v53, 1.0                                // 000000005354: D1010035 0001E535
	v_add_f32_e64 v54, v54, 1.0                                // 00000000535C: D1010036 0001E536
	v_add_f32_e64 v55, v55, 1.0                                // 000000005364: D1010037 0001E537
	v_rcp_f32_e32 v52, v52                                     // 00000000536C: 7E684534
	v_rcp_f32_e32 v53, v53                                     // 000000005370: 7E6A4535
	v_rcp_f32_e32 v54, v54                                     // 000000005374: 7E6C4536
	v_rcp_f32_e32 v55, v55                                     // 000000005378: 7E6E4537
	v_mul_f32_e32 v132, v132, v52                              // 00000000537C: 0B086984
	v_mul_f32_e32 v133, v133, v53                              // 000000005380: 0B0A6B85
	v_mul_f32_e32 v134, v134, v54                              // 000000005384: 0B0C6D86
	v_mul_f32_e32 v135, v135, v55                              // 000000005388: 0B0E6F87
	v_mul_f32_e32 v132, v132, v68                              // 00000000538C: 0B088984
	v_mul_f32_e32 v133, v133, v69                              // 000000005390: 0B0A8B85
	v_mul_f32_e32 v134, v134, v70                              // 000000005394: 0B0C8D86
	v_mul_f32_e32 v135, v135, v71                              // 000000005398: 0B0E8F87
	s_waitcnt vmcnt(28)                                        // 00000000539C: BF8C4F7C
	buffer_load_dwordx4 a[16:19], v42, s[12:15], 0 offen       // 0000000053A0: E05C1000 8083102A
	v_mul_f32_e64 v52, -v136, s6                               // 0000000053A8: D1050034 20000D88
	v_mul_f32_e64 v53, -v137, s6                               // 0000000053B0: D1050035 20000D89
	v_mul_f32_e64 v54, -v138, s6                               // 0000000053B8: D1050036 20000D8A
	v_mul_f32_e64 v55, -v139, s6                               // 0000000053C0: D1050037 20000D8B
	v_exp_f32_e32 v52, v52                                     // 0000000053C8: 7E684134
	v_exp_f32_e32 v53, v53                                     // 0000000053CC: 7E6A4135
	v_exp_f32_e32 v54, v54                                     // 0000000053D0: 7E6C4136
	v_exp_f32_e32 v55, v55                                     // 0000000053D4: 7E6E4137
	buffer_load_dwordx4 a[20:23], v43, s[12:15], 0 offen       // 0000000053D8: E05C1000 8083142B
	v_add_f32_e64 v52, v52, 1.0                                // 0000000053E0: D1010034 0001E534
	v_add_f32_e64 v53, v53, 1.0                                // 0000000053E8: D1010035 0001E535
	v_add_f32_e64 v54, v54, 1.0                                // 0000000053F0: D1010036 0001E536
	v_add_f32_e64 v55, v55, 1.0                                // 0000000053F8: D1010037 0001E537
	v_rcp_f32_e32 v52, v52                                     // 000000005400: 7E684534
	v_rcp_f32_e32 v53, v53                                     // 000000005404: 7E6A4535
	v_rcp_f32_e32 v54, v54                                     // 000000005408: 7E6C4536
	v_rcp_f32_e32 v55, v55                                     // 00000000540C: 7E6E4537
	v_mul_f32_e32 v136, v136, v52                              // 000000005410: 0B106988
	v_mul_f32_e32 v137, v137, v53                              // 000000005414: 0B126B89
	v_mul_f32_e32 v138, v138, v54                              // 000000005418: 0B146D8A
	v_mul_f32_e32 v139, v139, v55                              // 00000000541C: 0B166F8B
	v_mul_f32_e32 v136, v136, v72                              // 000000005420: 0B109188
	v_mul_f32_e32 v137, v137, v73                              // 000000005424: 0B129389
	v_mul_f32_e32 v138, v138, v74                              // 000000005428: 0B14958A
	v_mul_f32_e32 v139, v139, v75                              // 00000000542C: 0B16978B
	buffer_load_dwordx4 a[24:27], v44, s[12:15], 0 offen       // 000000005430: E05C1000 8083182C
	v_mul_f32_e64 v52, -v140, s6                               // 000000005438: D1050034 20000D8C
	v_mul_f32_e64 v53, -v141, s6                               // 000000005440: D1050035 20000D8D
	v_mul_f32_e64 v54, -v142, s6                               // 000000005448: D1050036 20000D8E
	v_mul_f32_e64 v55, -v143, s6                               // 000000005450: D1050037 20000D8F
	v_exp_f32_e32 v52, v52                                     // 000000005458: 7E684134
	v_exp_f32_e32 v53, v53                                     // 00000000545C: 7E6A4135
	v_exp_f32_e32 v54, v54                                     // 000000005460: 7E6C4136
	v_exp_f32_e32 v55, v55                                     // 000000005464: 7E6E4137
	buffer_load_dwordx4 a[28:31], v45, s[12:15], 0 offen       // 000000005468: E05C1000 80831C2D
	s_add_u32 s12, s78, s12                                    // 000000005470: 800C0C4E
	s_addc_u32 s13, 0, s13                                     // 000000005474: 820D0D80
	v_add_f32_e64 v52, v52, 1.0                                // 000000005478: D1010034 0001E534
	v_add_f32_e64 v53, v53, 1.0                                // 000000005480: D1010035 0001E535
	v_add_f32_e64 v54, v54, 1.0                                // 000000005488: D1010036 0001E536
	v_add_f32_e64 v55, v55, 1.0                                // 000000005490: D1010037 0001E537
	v_rcp_f32_e32 v52, v52                                     // 000000005498: 7E684534
	v_rcp_f32_e32 v53, v53                                     // 00000000549C: 7E6A4535
	v_rcp_f32_e32 v54, v54                                     // 0000000054A0: 7E6C4536
	v_rcp_f32_e32 v55, v55                                     // 0000000054A4: 7E6E4537
	v_mul_f32_e32 v140, v140, v52                              // 0000000054A8: 0B18698C
	v_mul_f32_e32 v141, v141, v53                              // 0000000054AC: 0B1A6B8D
	v_mul_f32_e32 v142, v142, v54                              // 0000000054B0: 0B1C6D8E
	v_mul_f32_e32 v143, v143, v55                              // 0000000054B4: 0B1E6F8F
	v_mul_f32_e32 v140, v140, v76                              // 0000000054B8: 0B18998C
	v_mul_f32_e32 v141, v141, v77                              // 0000000054BC: 0B1A9B8D
	v_mul_f32_e32 v142, v142, v78                              // 0000000054C0: 0B1C9D8E
	v_mul_f32_e32 v143, v143, v79                              // 0000000054C4: 0B1E9F8F
	s_waitcnt vmcnt(28)                                        // 0000000054C8: BF8C4F7C
	buffer_load_dwordx4 a[32:35], v42, s[12:15], 0 offen       // 0000000054CC: E05C1000 8083202A
	v_mul_f32_e64 v52, -v144, s6                               // 0000000054D4: D1050034 20000D90
	v_mul_f32_e64 v53, -v145, s6                               // 0000000054DC: D1050035 20000D91
	v_mul_f32_e64 v54, -v146, s6                               // 0000000054E4: D1050036 20000D92
	v_mul_f32_e64 v55, -v147, s6                               // 0000000054EC: D1050037 20000D93
	v_exp_f32_e32 v52, v52                                     // 0000000054F4: 7E684134
	v_exp_f32_e32 v53, v53                                     // 0000000054F8: 7E6A4135
	v_exp_f32_e32 v54, v54                                     // 0000000054FC: 7E6C4136
	v_exp_f32_e32 v55, v55                                     // 000000005500: 7E6E4137
	buffer_load_dwordx4 a[36:39], v43, s[12:15], 0 offen       // 000000005504: E05C1000 8083242B
	v_add_f32_e64 v52, v52, 1.0                                // 00000000550C: D1010034 0001E534
	v_add_f32_e64 v53, v53, 1.0                                // 000000005514: D1010035 0001E535
	v_add_f32_e64 v54, v54, 1.0                                // 00000000551C: D1010036 0001E536
	v_add_f32_e64 v55, v55, 1.0                                // 000000005524: D1010037 0001E537
	v_rcp_f32_e32 v52, v52                                     // 00000000552C: 7E684534
	v_rcp_f32_e32 v53, v53                                     // 000000005530: 7E6A4535
	v_rcp_f32_e32 v54, v54                                     // 000000005534: 7E6C4536
	v_rcp_f32_e32 v55, v55                                     // 000000005538: 7E6E4537
	v_mul_f32_e32 v144, v144, v52                              // 00000000553C: 0B206990
	v_mul_f32_e32 v145, v145, v53                              // 000000005540: 0B226B91
	v_mul_f32_e32 v146, v146, v54                              // 000000005544: 0B246D92
	v_mul_f32_e32 v147, v147, v55                              // 000000005548: 0B266F93
	v_mul_f32_e32 v144, v144, v80                              // 00000000554C: 0B20A190
	v_mul_f32_e32 v145, v145, v81                              // 000000005550: 0B22A391
	v_mul_f32_e32 v146, v146, v82                              // 000000005554: 0B24A592
	v_mul_f32_e32 v147, v147, v83                              // 000000005558: 0B26A793
	buffer_load_dwordx4 a[40:43], v44, s[12:15], 0 offen       // 00000000555C: E05C1000 8083282C
	v_mul_f32_e64 v52, -v148, s6                               // 000000005564: D1050034 20000D94
	v_mul_f32_e64 v53, -v149, s6                               // 00000000556C: D1050035 20000D95
	v_mul_f32_e64 v54, -v150, s6                               // 000000005574: D1050036 20000D96
	v_mul_f32_e64 v55, -v151, s6                               // 00000000557C: D1050037 20000D97
	v_exp_f32_e32 v52, v52                                     // 000000005584: 7E684134
	v_exp_f32_e32 v53, v53                                     // 000000005588: 7E6A4135
	v_exp_f32_e32 v54, v54                                     // 00000000558C: 7E6C4136
	v_exp_f32_e32 v55, v55                                     // 000000005590: 7E6E4137
	buffer_load_dwordx4 a[44:47], v45, s[12:15], 0 offen       // 000000005594: E05C1000 80832C2D
	s_add_u32 s12, s78, s12                                    // 00000000559C: 800C0C4E
	s_addc_u32 s13, 0, s13                                     // 0000000055A0: 820D0D80
	v_add_f32_e64 v52, v52, 1.0                                // 0000000055A4: D1010034 0001E534
	v_add_f32_e64 v53, v53, 1.0                                // 0000000055AC: D1010035 0001E535
	v_add_f32_e64 v54, v54, 1.0                                // 0000000055B4: D1010036 0001E536
	v_add_f32_e64 v55, v55, 1.0                                // 0000000055BC: D1010037 0001E537
	v_rcp_f32_e32 v52, v52                                     // 0000000055C4: 7E684534
	v_rcp_f32_e32 v53, v53                                     // 0000000055C8: 7E6A4535
	v_rcp_f32_e32 v54, v54                                     // 0000000055CC: 7E6C4536
	v_rcp_f32_e32 v55, v55                                     // 0000000055D0: 7E6E4537
	v_mul_f32_e32 v148, v148, v52                              // 0000000055D4: 0B286994
	v_mul_f32_e32 v149, v149, v53                              // 0000000055D8: 0B2A6B95
	v_mul_f32_e32 v150, v150, v54                              // 0000000055DC: 0B2C6D96
	v_mul_f32_e32 v151, v151, v55                              // 0000000055E0: 0B2E6F97
	v_mul_f32_e32 v148, v148, v84                              // 0000000055E4: 0B28A994
	v_mul_f32_e32 v149, v149, v85                              // 0000000055E8: 0B2AAB95
	v_mul_f32_e32 v150, v150, v86                              // 0000000055EC: 0B2CAD96
	v_mul_f32_e32 v151, v151, v87                              // 0000000055F0: 0B2EAF97
	s_waitcnt vmcnt(28)                                        // 0000000055F4: BF8C4F7C
	buffer_load_dwordx4 a[48:51], v42, s[12:15], 0 offen       // 0000000055F8: E05C1000 8083302A
	v_mul_f32_e64 v52, -v152, s6                               // 000000005600: D1050034 20000D98
	v_mul_f32_e64 v53, -v153, s6                               // 000000005608: D1050035 20000D99
	v_mul_f32_e64 v54, -v154, s6                               // 000000005610: D1050036 20000D9A
	v_mul_f32_e64 v55, -v155, s6                               // 000000005618: D1050037 20000D9B
	v_exp_f32_e32 v52, v52                                     // 000000005620: 7E684134
	v_exp_f32_e32 v53, v53                                     // 000000005624: 7E6A4135
	v_exp_f32_e32 v54, v54                                     // 000000005628: 7E6C4136
	v_exp_f32_e32 v55, v55                                     // 00000000562C: 7E6E4137
	buffer_load_dwordx4 a[52:55], v43, s[12:15], 0 offen       // 000000005630: E05C1000 8083342B
	v_add_f32_e64 v52, v52, 1.0                                // 000000005638: D1010034 0001E534
	v_add_f32_e64 v53, v53, 1.0                                // 000000005640: D1010035 0001E535
	v_add_f32_e64 v54, v54, 1.0                                // 000000005648: D1010036 0001E536
	v_add_f32_e64 v55, v55, 1.0                                // 000000005650: D1010037 0001E537
	v_rcp_f32_e32 v52, v52                                     // 000000005658: 7E684534
	v_rcp_f32_e32 v53, v53                                     // 00000000565C: 7E6A4535
	v_rcp_f32_e32 v54, v54                                     // 000000005660: 7E6C4536
	v_rcp_f32_e32 v55, v55                                     // 000000005664: 7E6E4537
	v_mul_f32_e32 v152, v152, v52                              // 000000005668: 0B306998
	v_mul_f32_e32 v153, v153, v53                              // 00000000566C: 0B326B99
	v_mul_f32_e32 v154, v154, v54                              // 000000005670: 0B346D9A
	v_mul_f32_e32 v155, v155, v55                              // 000000005674: 0B366F9B
	v_mul_f32_e32 v152, v152, v88                              // 000000005678: 0B30B198
	v_mul_f32_e32 v153, v153, v89                              // 00000000567C: 0B32B399
	v_mul_f32_e32 v154, v154, v90                              // 000000005680: 0B34B59A
	v_mul_f32_e32 v155, v155, v91                              // 000000005684: 0B36B79B
	buffer_load_dwordx4 a[56:59], v44, s[12:15], 0 offen       // 000000005688: E05C1000 8083382C
	v_mul_f32_e64 v52, -v156, s6                               // 000000005690: D1050034 20000D9C
	v_mul_f32_e64 v53, -v157, s6                               // 000000005698: D1050035 20000D9D
	v_mul_f32_e64 v54, -v158, s6                               // 0000000056A0: D1050036 20000D9E
	v_mul_f32_e64 v55, -v159, s6                               // 0000000056A8: D1050037 20000D9F
	v_exp_f32_e32 v52, v52                                     // 0000000056B0: 7E684134
	v_exp_f32_e32 v53, v53                                     // 0000000056B4: 7E6A4135
	v_exp_f32_e32 v54, v54                                     // 0000000056B8: 7E6C4136
	v_exp_f32_e32 v55, v55                                     // 0000000056BC: 7E6E4137
	buffer_load_dwordx4 a[60:63], v45, s[12:15], 0 offen       // 0000000056C0: E05C1000 80833C2D
	s_add_u32 s12, s78, s12                                    // 0000000056C8: 800C0C4E
	s_addc_u32 s13, 0, s13                                     // 0000000056CC: 820D0D80
	v_add_f32_e64 v52, v52, 1.0                                // 0000000056D0: D1010034 0001E534
	v_add_f32_e64 v53, v53, 1.0                                // 0000000056D8: D1010035 0001E535
	v_add_f32_e64 v54, v54, 1.0                                // 0000000056E0: D1010036 0001E536
	v_add_f32_e64 v55, v55, 1.0                                // 0000000056E8: D1010037 0001E537
	v_rcp_f32_e32 v52, v52                                     // 0000000056F0: 7E684534
	v_rcp_f32_e32 v53, v53                                     // 0000000056F4: 7E6A4535
	v_rcp_f32_e32 v54, v54                                     // 0000000056F8: 7E6C4536
	v_rcp_f32_e32 v55, v55                                     // 0000000056FC: 7E6E4537
	v_mul_f32_e32 v156, v156, v52                              // 000000005700: 0B38699C
	v_mul_f32_e32 v157, v157, v53                              // 000000005704: 0B3A6B9D
	v_mul_f32_e32 v158, v158, v54                              // 000000005708: 0B3C6D9E
	v_mul_f32_e32 v159, v159, v55                              // 00000000570C: 0B3E6F9F
	v_mul_f32_e32 v156, v156, v92                              // 000000005710: 0B38B99C
	v_mul_f32_e32 v157, v157, v93                              // 000000005714: 0B3ABB9D
	v_mul_f32_e32 v158, v158, v94                              // 000000005718: 0B3CBD9E
	v_mul_f32_e32 v159, v159, v95                              // 00000000571C: 0B3EBF9F
	s_waitcnt vmcnt(28)                                        // 000000005720: BF8C4F7C
	buffer_load_dwordx4 a[64:67], v42, s[12:15], 0 offen       // 000000005724: E05C1000 8083402A
	v_mul_f32_e64 v52, -v160, s6                               // 00000000572C: D1050034 20000DA0
	v_mul_f32_e64 v53, -v161, s6                               // 000000005734: D1050035 20000DA1
	v_mul_f32_e64 v54, -v162, s6                               // 00000000573C: D1050036 20000DA2
	v_mul_f32_e64 v55, -v163, s6                               // 000000005744: D1050037 20000DA3
	v_exp_f32_e32 v52, v52                                     // 00000000574C: 7E684134
	v_exp_f32_e32 v53, v53                                     // 000000005750: 7E6A4135
	v_exp_f32_e32 v54, v54                                     // 000000005754: 7E6C4136
	v_exp_f32_e32 v55, v55                                     // 000000005758: 7E6E4137
	buffer_load_dwordx4 a[68:71], v43, s[12:15], 0 offen       // 00000000575C: E05C1000 8083442B
	v_add_f32_e64 v52, v52, 1.0                                // 000000005764: D1010034 0001E534
	v_add_f32_e64 v53, v53, 1.0                                // 00000000576C: D1010035 0001E535
	v_add_f32_e64 v54, v54, 1.0                                // 000000005774: D1010036 0001E536
	v_add_f32_e64 v55, v55, 1.0                                // 00000000577C: D1010037 0001E537
	v_rcp_f32_e32 v52, v52                                     // 000000005784: 7E684534
	v_rcp_f32_e32 v53, v53                                     // 000000005788: 7E6A4535
	v_rcp_f32_e32 v54, v54                                     // 00000000578C: 7E6C4536
	v_rcp_f32_e32 v55, v55                                     // 000000005790: 7E6E4537
	v_mul_f32_e32 v160, v160, v52                              // 000000005794: 0B4069A0
	v_mul_f32_e32 v161, v161, v53                              // 000000005798: 0B426BA1
	v_mul_f32_e32 v162, v162, v54                              // 00000000579C: 0B446DA2
	v_mul_f32_e32 v163, v163, v55                              // 0000000057A0: 0B466FA3
	v_mul_f32_e32 v160, v160, v96                              // 0000000057A4: 0B40C1A0
	v_mul_f32_e32 v161, v161, v97                              // 0000000057A8: 0B42C3A1
	v_mul_f32_e32 v162, v162, v98                              // 0000000057AC: 0B44C5A2
	v_mul_f32_e32 v163, v163, v99                              // 0000000057B0: 0B46C7A3
	buffer_load_dwordx4 a[72:75], v44, s[12:15], 0 offen       // 0000000057B4: E05C1000 8083482C
	v_mul_f32_e64 v52, -v164, s6                               // 0000000057BC: D1050034 20000DA4
	v_mul_f32_e64 v53, -v165, s6                               // 0000000057C4: D1050035 20000DA5
	v_mul_f32_e64 v54, -v166, s6                               // 0000000057CC: D1050036 20000DA6
	v_mul_f32_e64 v55, -v167, s6                               // 0000000057D4: D1050037 20000DA7
	v_exp_f32_e32 v52, v52                                     // 0000000057DC: 7E684134
	v_exp_f32_e32 v53, v53                                     // 0000000057E0: 7E6A4135
	v_exp_f32_e32 v54, v54                                     // 0000000057E4: 7E6C4136
	v_exp_f32_e32 v55, v55                                     // 0000000057E8: 7E6E4137
	buffer_load_dwordx4 a[76:79], v45, s[12:15], 0 offen       // 0000000057EC: E05C1000 80834C2D
	s_add_u32 s12, s78, s12                                    // 0000000057F4: 800C0C4E
	s_addc_u32 s13, 0, s13                                     // 0000000057F8: 820D0D80
	v_add_f32_e64 v52, v52, 1.0                                // 0000000057FC: D1010034 0001E534
	v_add_f32_e64 v53, v53, 1.0                                // 000000005804: D1010035 0001E535
	v_add_f32_e64 v54, v54, 1.0                                // 00000000580C: D1010036 0001E536
	v_add_f32_e64 v55, v55, 1.0                                // 000000005814: D1010037 0001E537
	v_rcp_f32_e32 v52, v52                                     // 00000000581C: 7E684534
	v_rcp_f32_e32 v53, v53                                     // 000000005820: 7E6A4535
	v_rcp_f32_e32 v54, v54                                     // 000000005824: 7E6C4536
	v_rcp_f32_e32 v55, v55                                     // 000000005828: 7E6E4537
	v_mul_f32_e32 v164, v164, v52                              // 00000000582C: 0B4869A4
	v_mul_f32_e32 v165, v165, v53                              // 000000005830: 0B4A6BA5
	v_mul_f32_e32 v166, v166, v54                              // 000000005834: 0B4C6DA6
	v_mul_f32_e32 v167, v167, v55                              // 000000005838: 0B4E6FA7
	v_mul_f32_e32 v164, v164, v100                             // 00000000583C: 0B48C9A4
	v_mul_f32_e32 v165, v165, v101                             // 000000005840: 0B4ACBA5
	v_mul_f32_e32 v166, v166, v102                             // 000000005844: 0B4CCDA6
	v_mul_f32_e32 v167, v167, v103                             // 000000005848: 0B4ECFA7
	s_waitcnt vmcnt(28)                                        // 00000000584C: BF8C4F7C
	buffer_load_dwordx4 a[80:83], v42, s[12:15], 0 offen       // 000000005850: E05C1000 8083502A
	v_mul_f32_e64 v52, -v168, s6                               // 000000005858: D1050034 20000DA8
	v_mul_f32_e64 v53, -v169, s6                               // 000000005860: D1050035 20000DA9
	v_mul_f32_e64 v54, -v170, s6                               // 000000005868: D1050036 20000DAA
	v_mul_f32_e64 v55, -v171, s6                               // 000000005870: D1050037 20000DAB
	v_exp_f32_e32 v52, v52                                     // 000000005878: 7E684134
	v_exp_f32_e32 v53, v53                                     // 00000000587C: 7E6A4135
	v_exp_f32_e32 v54, v54                                     // 000000005880: 7E6C4136
	v_exp_f32_e32 v55, v55                                     // 000000005884: 7E6E4137
	buffer_load_dwordx4 a[84:87], v43, s[12:15], 0 offen       // 000000005888: E05C1000 8083542B
	v_add_f32_e64 v52, v52, 1.0                                // 000000005890: D1010034 0001E534
	v_add_f32_e64 v53, v53, 1.0                                // 000000005898: D1010035 0001E535
	v_add_f32_e64 v54, v54, 1.0                                // 0000000058A0: D1010036 0001E536
	v_add_f32_e64 v55, v55, 1.0                                // 0000000058A8: D1010037 0001E537
	v_rcp_f32_e32 v52, v52                                     // 0000000058B0: 7E684534
	v_rcp_f32_e32 v53, v53                                     // 0000000058B4: 7E6A4535
	v_rcp_f32_e32 v54, v54                                     // 0000000058B8: 7E6C4536
	v_rcp_f32_e32 v55, v55                                     // 0000000058BC: 7E6E4537
	v_mul_f32_e32 v168, v168, v52                              // 0000000058C0: 0B5069A8
	v_mul_f32_e32 v169, v169, v53                              // 0000000058C4: 0B526BA9
	v_mul_f32_e32 v170, v170, v54                              // 0000000058C8: 0B546DAA
	v_mul_f32_e32 v171, v171, v55                              // 0000000058CC: 0B566FAB
	v_mul_f32_e32 v168, v168, v104                             // 0000000058D0: 0B50D1A8
	v_mul_f32_e32 v169, v169, v105                             // 0000000058D4: 0B52D3A9
	v_mul_f32_e32 v170, v170, v106                             // 0000000058D8: 0B54D5AA
	v_mul_f32_e32 v171, v171, v107                             // 0000000058DC: 0B56D7AB
	buffer_load_dwordx4 a[88:91], v44, s[12:15], 0 offen       // 0000000058E0: E05C1000 8083582C
	v_mul_f32_e64 v52, -v172, s6                               // 0000000058E8: D1050034 20000DAC
	v_mul_f32_e64 v53, -v173, s6                               // 0000000058F0: D1050035 20000DAD
	v_mul_f32_e64 v54, -v174, s6                               // 0000000058F8: D1050036 20000DAE
	v_mul_f32_e64 v55, -v175, s6                               // 000000005900: D1050037 20000DAF
	v_exp_f32_e32 v52, v52                                     // 000000005908: 7E684134
	v_exp_f32_e32 v53, v53                                     // 00000000590C: 7E6A4135
	v_exp_f32_e32 v54, v54                                     // 000000005910: 7E6C4136
	v_exp_f32_e32 v55, v55                                     // 000000005914: 7E6E4137
	buffer_load_dwordx4 a[92:95], v45, s[12:15], 0 offen       // 000000005918: E05C1000 80835C2D
	s_add_u32 s12, s78, s12                                    // 000000005920: 800C0C4E
	s_addc_u32 s13, 0, s13                                     // 000000005924: 820D0D80
	v_add_f32_e64 v52, v52, 1.0                                // 000000005928: D1010034 0001E534
	v_add_f32_e64 v53, v53, 1.0                                // 000000005930: D1010035 0001E535
	v_add_f32_e64 v54, v54, 1.0                                // 000000005938: D1010036 0001E536
	v_add_f32_e64 v55, v55, 1.0                                // 000000005940: D1010037 0001E537
	v_rcp_f32_e32 v52, v52                                     // 000000005948: 7E684534
	v_rcp_f32_e32 v53, v53                                     // 00000000594C: 7E6A4535
	v_rcp_f32_e32 v54, v54                                     // 000000005950: 7E6C4536
	v_rcp_f32_e32 v55, v55                                     // 000000005954: 7E6E4537
	v_mul_f32_e32 v172, v172, v52                              // 000000005958: 0B5869AC
	v_mul_f32_e32 v173, v173, v53                              // 00000000595C: 0B5A6BAD
	v_mul_f32_e32 v174, v174, v54                              // 000000005960: 0B5C6DAE
	v_mul_f32_e32 v175, v175, v55                              // 000000005964: 0B5E6FAF
	v_mul_f32_e32 v172, v172, v108                             // 000000005968: 0B58D9AC
	v_mul_f32_e32 v173, v173, v109                             // 00000000596C: 0B5ADBAD
	v_mul_f32_e32 v174, v174, v110                             // 000000005970: 0B5CDDAE
	v_mul_f32_e32 v175, v175, v111                             // 000000005974: 0B5EDFAF
	s_waitcnt vmcnt(28)                                        // 000000005978: BF8C4F7C
	buffer_load_dwordx4 a[96:99], v42, s[12:15], 0 offen       // 00000000597C: E05C1000 8083602A
	v_mul_f32_e64 v52, -v176, s6                               // 000000005984: D1050034 20000DB0
	v_mul_f32_e64 v53, -v177, s6                               // 00000000598C: D1050035 20000DB1
	v_mul_f32_e64 v54, -v178, s6                               // 000000005994: D1050036 20000DB2
	v_mul_f32_e64 v55, -v179, s6                               // 00000000599C: D1050037 20000DB3
	v_exp_f32_e32 v52, v52                                     // 0000000059A4: 7E684134
	v_exp_f32_e32 v53, v53                                     // 0000000059A8: 7E6A4135
	v_exp_f32_e32 v54, v54                                     // 0000000059AC: 7E6C4136
	v_exp_f32_e32 v55, v55                                     // 0000000059B0: 7E6E4137
	buffer_load_dwordx4 a[100:103], v43, s[12:15], 0 offen     // 0000000059B4: E05C1000 8083642B
	v_add_f32_e64 v52, v52, 1.0                                // 0000000059BC: D1010034 0001E534
	v_add_f32_e64 v53, v53, 1.0                                // 0000000059C4: D1010035 0001E535
	v_add_f32_e64 v54, v54, 1.0                                // 0000000059CC: D1010036 0001E536
	v_add_f32_e64 v55, v55, 1.0                                // 0000000059D4: D1010037 0001E537
	v_rcp_f32_e32 v52, v52                                     // 0000000059DC: 7E684534
	v_rcp_f32_e32 v53, v53                                     // 0000000059E0: 7E6A4535
	v_rcp_f32_e32 v54, v54                                     // 0000000059E4: 7E6C4536
	v_rcp_f32_e32 v55, v55                                     // 0000000059E8: 7E6E4537
	v_mul_f32_e32 v176, v176, v52                              // 0000000059EC: 0B6069B0
	v_mul_f32_e32 v177, v177, v53                              // 0000000059F0: 0B626BB1
	v_mul_f32_e32 v178, v178, v54                              // 0000000059F4: 0B646DB2
	v_mul_f32_e32 v179, v179, v55                              // 0000000059F8: 0B666FB3
	v_mul_f32_e32 v176, v176, v112                             // 0000000059FC: 0B60E1B0
	v_mul_f32_e32 v177, v177, v113                             // 000000005A00: 0B62E3B1
	v_mul_f32_e32 v178, v178, v114                             // 000000005A04: 0B64E5B2
	v_mul_f32_e32 v179, v179, v115                             // 000000005A08: 0B66E7B3
	buffer_load_dwordx4 a[104:107], v44, s[12:15], 0 offen     // 000000005A0C: E05C1000 8083682C
	v_mul_f32_e64 v52, -v180, s6                               // 000000005A14: D1050034 20000DB4
	v_mul_f32_e64 v53, -v181, s6                               // 000000005A1C: D1050035 20000DB5
	v_mul_f32_e64 v54, -v182, s6                               // 000000005A24: D1050036 20000DB6
	v_mul_f32_e64 v55, -v183, s6                               // 000000005A2C: D1050037 20000DB7
	v_exp_f32_e32 v52, v52                                     // 000000005A34: 7E684134
	v_exp_f32_e32 v53, v53                                     // 000000005A38: 7E6A4135
	v_exp_f32_e32 v54, v54                                     // 000000005A3C: 7E6C4136
	v_exp_f32_e32 v55, v55                                     // 000000005A40: 7E6E4137
	buffer_load_dwordx4 a[108:111], v45, s[12:15], 0 offen     // 000000005A44: E05C1000 80836C2D
	s_add_u32 s12, s78, s12                                    // 000000005A4C: 800C0C4E
	s_addc_u32 s13, 0, s13                                     // 000000005A50: 820D0D80
	v_add_f32_e64 v52, v52, 1.0                                // 000000005A54: D1010034 0001E534
	v_add_f32_e64 v53, v53, 1.0                                // 000000005A5C: D1010035 0001E535
	v_add_f32_e64 v54, v54, 1.0                                // 000000005A64: D1010036 0001E536
	v_add_f32_e64 v55, v55, 1.0                                // 000000005A6C: D1010037 0001E537
	v_rcp_f32_e32 v52, v52                                     // 000000005A74: 7E684534
	v_rcp_f32_e32 v53, v53                                     // 000000005A78: 7E6A4535
	v_rcp_f32_e32 v54, v54                                     // 000000005A7C: 7E6C4536
	v_rcp_f32_e32 v55, v55                                     // 000000005A80: 7E6E4537
	v_mul_f32_e32 v180, v180, v52                              // 000000005A84: 0B6869B4
	v_mul_f32_e32 v181, v181, v53                              // 000000005A88: 0B6A6BB5
	v_mul_f32_e32 v182, v182, v54                              // 000000005A8C: 0B6C6DB6
	v_mul_f32_e32 v183, v183, v55                              // 000000005A90: 0B6E6FB7
	v_mul_f32_e32 v180, v180, v116                             // 000000005A94: 0B68E9B4
	v_mul_f32_e32 v181, v181, v117                             // 000000005A98: 0B6AEBB5
	v_mul_f32_e32 v182, v182, v118                             // 000000005A9C: 0B6CEDB6
	v_mul_f32_e32 v183, v183, v119                             // 000000005AA0: 0B6EEFB7
	s_waitcnt vmcnt(28)                                        // 000000005AA4: BF8C4F7C
	buffer_load_dwordx4 a[112:115], v42, s[12:15], 0 offen     // 000000005AA8: E05C1000 8083702A
	v_mul_f32_e64 v52, -v184, s6                               // 000000005AB0: D1050034 20000DB8
	v_mul_f32_e64 v53, -v185, s6                               // 000000005AB8: D1050035 20000DB9
	v_mul_f32_e64 v54, -v186, s6                               // 000000005AC0: D1050036 20000DBA
	v_mul_f32_e64 v55, -v187, s6                               // 000000005AC8: D1050037 20000DBB
	v_exp_f32_e32 v52, v52                                     // 000000005AD0: 7E684134
	v_exp_f32_e32 v53, v53                                     // 000000005AD4: 7E6A4135
	v_exp_f32_e32 v54, v54                                     // 000000005AD8: 7E6C4136
	v_exp_f32_e32 v55, v55                                     // 000000005ADC: 7E6E4137
	buffer_load_dwordx4 a[116:119], v43, s[12:15], 0 offen     // 000000005AE0: E05C1000 8083742B
	v_add_f32_e64 v52, v52, 1.0                                // 000000005AE8: D1010034 0001E534
	v_add_f32_e64 v53, v53, 1.0                                // 000000005AF0: D1010035 0001E535
	v_add_f32_e64 v54, v54, 1.0                                // 000000005AF8: D1010036 0001E536
	v_add_f32_e64 v55, v55, 1.0                                // 000000005B00: D1010037 0001E537
	v_rcp_f32_e32 v52, v52                                     // 000000005B08: 7E684534
	v_rcp_f32_e32 v53, v53                                     // 000000005B0C: 7E6A4535
	v_rcp_f32_e32 v54, v54                                     // 000000005B10: 7E6C4536
	v_rcp_f32_e32 v55, v55                                     // 000000005B14: 7E6E4537
	v_mul_f32_e32 v184, v184, v52                              // 000000005B18: 0B7069B8
	v_mul_f32_e32 v185, v185, v53                              // 000000005B1C: 0B726BB9
	v_mul_f32_e32 v186, v186, v54                              // 000000005B20: 0B746DBA
	v_mul_f32_e32 v187, v187, v55                              // 000000005B24: 0B766FBB
	v_mul_f32_e32 v184, v184, v120                             // 000000005B28: 0B70F1B8
	v_mul_f32_e32 v185, v185, v121                             // 000000005B2C: 0B72F3B9
	v_mul_f32_e32 v186, v186, v122                             // 000000005B30: 0B74F5BA
	v_mul_f32_e32 v187, v187, v123                             // 000000005B34: 0B76F7BB
	buffer_load_dwordx4 a[120:123], v44, s[12:15], 0 offen     // 000000005B38: E05C1000 8083782C
	v_mul_f32_e64 v52, -v188, s6                               // 000000005B40: D1050034 20000DBC
	v_mul_f32_e64 v53, -v189, s6                               // 000000005B48: D1050035 20000DBD
	v_mul_f32_e64 v54, -v190, s6                               // 000000005B50: D1050036 20000DBE
	v_mul_f32_e64 v55, -v191, s6                               // 000000005B58: D1050037 20000DBF
	v_exp_f32_e32 v52, v52                                     // 000000005B60: 7E684134
	v_exp_f32_e32 v53, v53                                     // 000000005B64: 7E6A4135
	v_exp_f32_e32 v54, v54                                     // 000000005B68: 7E6C4136
	v_exp_f32_e32 v55, v55                                     // 000000005B6C: 7E6E4137
	buffer_load_dwordx4 a[124:127], v45, s[12:15], 0 offen     // 000000005B70: E05C1000 80837C2D
	v_add_f32_e64 v52, v52, 1.0                                // 000000005B78: D1010034 0001E534
	v_add_f32_e64 v53, v53, 1.0                                // 000000005B80: D1010035 0001E535
	v_add_f32_e64 v54, v54, 1.0                                // 000000005B88: D1010036 0001E536
	v_add_f32_e64 v55, v55, 1.0                                // 000000005B90: D1010037 0001E537
	v_rcp_f32_e32 v52, v52                                     // 000000005B98: 7E684534
	v_rcp_f32_e32 v53, v53                                     // 000000005B9C: 7E6A4535
	v_rcp_f32_e32 v54, v54                                     // 000000005BA0: 7E6C4536
	v_rcp_f32_e32 v55, v55                                     // 000000005BA4: 7E6E4537
	v_mul_f32_e32 v188, v188, v52                              // 000000005BA8: 0B7869BC
	v_mul_f32_e32 v189, v189, v53                              // 000000005BAC: 0B7A6BBD
	v_mul_f32_e32 v190, v190, v54                              // 000000005BB0: 0B7C6DBE
	v_mul_f32_e32 v191, v191, v55                              // 000000005BB4: 0B7E6FBF
	v_mul_f32_e32 v188, v188, v124                             // 000000005BB8: 0B78F9BC
	v_mul_f32_e32 v189, v189, v125                             // 000000005BBC: 0B7AFBBD
	v_mul_f32_e32 v190, v190, v126                             // 000000005BC0: 0B7CFDBE
	v_mul_f32_e32 v191, v191, v127                             // 000000005BC4: 0B7EFFBF
	v_lshlrev_b32_e32 v52, 2, v0                               // 000000005BC8: 24680082
	s_mul_i32 s60, s82, s71                                    // 000000005BCC: 923C4752
	v_add_u32_e64 v80, v52, s60                                // 000000005BD0: D1340050 00007934
	v_mov_b32_e32 v81, 0                                       // 000000005BD8: 7EA20280
	s_mul_i32 s60, s83, s71                                    // 000000005BDC: 923C4753
	v_add_u32_e64 v82, v52, s60                                // 000000005BE0: D1340052 00007934
	v_mov_b32_e32 v83, 0                                       // 000000005BE8: 7EA60280
	s_mul_i32 s60, s84, s71                                    // 000000005BEC: 923C4754
	v_add_u32_e64 v84, v52, s60                                // 000000005BF0: D1340054 00007934
	v_mov_b32_e32 v85, 0                                       // 000000005BF8: 7EAA0280
	s_mul_i32 s60, s85, s71                                    // 000000005BFC: 923C4755
	v_add_u32_e64 v86, v52, s60                                // 000000005C00: D1340056 00007934
	v_mov_b32_e32 v87, 0                                       // 000000005C08: 7EAE0280
	s_mul_i32 s60, s86, s71                                    // 000000005C0C: 923C4756
	v_add_u32_e64 v88, v52, s60                                // 000000005C10: D1340058 00007934
	v_mov_b32_e32 v89, 0                                       // 000000005C18: 7EB20280
	s_mul_i32 s60, s87, s71                                    // 000000005C1C: 923C4757
	v_add_u32_e64 v90, v52, s60                                // 000000005C20: D134005A 00007934
	v_mov_b32_e32 v91, 0                                       // 000000005C28: 7EB60280
	s_mul_i32 s60, s88, s71                                    // 000000005C2C: 923C4758
	v_add_u32_e64 v92, v52, s60                                // 000000005C30: D134005C 00007934
	v_mov_b32_e32 v93, 0                                       // 000000005C38: 7EBA0280
	s_mul_i32 s60, s89, s71                                    // 000000005C3C: 923C4759
	v_add_u32_e64 v94, v52, s60                                // 000000005C40: D134005E 00007934
	v_mov_b32_e32 v95, 0                                       // 000000005C48: 7EBE0280
	buffer_load_dword v12, v5, s[16:19], 0 offen               // 000000005C4C: E0501000 80040C05
	v_mov_b32_e32 v22, 0x358637bd                              // 000000005C54: 7E2C02FF 358637BD
	v_mov_b32_e32 v23, 0x358637bd                              // 000000005C5C: 7E2E02FF 358637BD
	v_max3_f32 v22, |v128|, |v129|, v22                        // 000000005C64: D1D30316 045B0380
	v_max3_f32 v22, |v130|, |v131|, v22                        // 000000005C6C: D1D30316 045B0782
	v_max3_f32 v23, |v132|, |v133|, v23                        // 000000005C74: D1D30317 045F0B84
	v_max3_f32 v23, |v134|, |v135|, v23                        // 000000005C7C: D1D30317 045F0F86
	v_max3_f32 v22, |v136|, |v137|, v22                        // 000000005C84: D1D30316 045B1388
	v_max3_f32 v22, |v138|, |v139|, v22                        // 000000005C8C: D1D30316 045B178A
	v_max3_f32 v23, |v140|, |v141|, v23                        // 000000005C94: D1D30317 045F1B8C
	v_max3_f32 v23, |v142|, |v143|, v23                        // 000000005C9C: D1D30317 045F1F8E
	v_max3_f32 v22, |v144|, |v145|, v22                        // 000000005CA4: D1D30316 045B2390
	v_max3_f32 v22, |v146|, |v147|, v22                        // 000000005CAC: D1D30316 045B2792
	v_max3_f32 v23, |v148|, |v149|, v23                        // 000000005CB4: D1D30317 045F2B94
	v_max3_f32 v23, |v150|, |v151|, v23                        // 000000005CBC: D1D30317 045F2F96
	v_max3_f32 v22, |v152|, |v153|, v22                        // 000000005CC4: D1D30316 045B3398
	v_max3_f32 v22, |v154|, |v155|, v22                        // 000000005CCC: D1D30316 045B379A
	v_max3_f32 v23, |v156|, |v157|, v23                        // 000000005CD4: D1D30317 045F3B9C
	v_max3_f32 v23, |v158|, |v159|, v23                        // 000000005CDC: D1D30317 045F3F9E
	v_max3_f32 v22, |v160|, |v161|, v22                        // 000000005CE4: D1D30316 045B43A0
	v_max3_f32 v22, |v162|, |v163|, v22                        // 000000005CEC: D1D30316 045B47A2
	v_max3_f32 v23, |v164|, |v165|, v23                        // 000000005CF4: D1D30317 045F4BA4
	v_max3_f32 v23, |v166|, |v167|, v23                        // 000000005CFC: D1D30317 045F4FA6
	v_max3_f32 v22, |v168|, |v169|, v22                        // 000000005D04: D1D30316 045B53A8
	v_max3_f32 v22, |v170|, |v171|, v22                        // 000000005D0C: D1D30316 045B57AA
	v_max3_f32 v23, |v172|, |v173|, v23                        // 000000005D14: D1D30317 045F5BAC
	v_max3_f32 v23, |v174|, |v175|, v23                        // 000000005D1C: D1D30317 045F5FAE
	v_max3_f32 v22, |v176|, |v177|, v22                        // 000000005D24: D1D30316 045B63B0
	v_max3_f32 v22, |v178|, |v179|, v22                        // 000000005D2C: D1D30316 045B67B2
	v_max3_f32 v23, |v180|, |v181|, v23                        // 000000005D34: D1D30317 045F6BB4
	v_max3_f32 v23, |v182|, |v183|, v23                        // 000000005D3C: D1D30317 045F6FB6
	v_max3_f32 v22, |v184|, |v185|, v22                        // 000000005D44: D1D30316 045B73B8
	v_max3_f32 v22, |v186|, |v187|, v22                        // 000000005D4C: D1D30316 045B77BA
	v_max3_f32 v23, |v188|, |v189|, v23                        // 000000005D54: D1D30317 045F7BBC
	v_max3_f32 v23, |v190|, |v191|, v23                        // 000000005D5C: D1D30317 045F7FBE
	v_lshlrev_b32_e32 v52, 3, v0                               // 000000005D64: 24680083
	s_mul_i32 s60, 0x200, s7                                   // 000000005D68: 923C07FF 00000200
	v_add_u32_e32 v52, s60, v52                                // 000000005D70: 6868683C
	ds_write_b64 v52, v[22:23] offset:16640                    // 000000005D74: D89A4100 00001634
	s_waitcnt lgkmcnt(0)                                       // 000000005D7C: BF8CC07F
	s_barrier                                                  // 000000005D80: BF8A0000
	v_and_b32_e32 v52, 15, v0                                  // 000000005D84: 2668008F
	v_lshlrev_b32_e32 v52, 3, v52                              // 000000005D88: 24686883
	ds_read_b64 v[96:97], v52 offset:16640                     // 000000005D8C: D8EC4100 60000034
	ds_read_b64 v[98:99], v52 offset:16768                     // 000000005D94: D8EC4180 62000034
	ds_read_b64 v[100:101], v52 offset:16896                   // 000000005D9C: D8EC4200 64000034
	ds_read_b64 v[102:103], v52 offset:17024                   // 000000005DA4: D8EC4280 66000034
	ds_read_b64 v[104:105], v52 offset:17152                   // 000000005DAC: D8EC4300 68000034
	ds_read_b64 v[106:107], v52 offset:17280                   // 000000005DB4: D8EC4380 6A000034
	ds_read_b64 v[108:109], v52 offset:17408                   // 000000005DBC: D8EC4400 6C000034
	ds_read_b64 v[110:111], v52 offset:17536                   // 000000005DC4: D8EC4480 6E000034
	ds_read_b64 v[112:113], v52 offset:17664                   // 000000005DCC: D8EC4500 70000034
	ds_read_b64 v[114:115], v52 offset:17792                   // 000000005DD4: D8EC4580 72000034
	ds_read_b64 v[116:117], v52 offset:17920                   // 000000005DDC: D8EC4600 74000034
	ds_read_b64 v[118:119], v52 offset:18048                   // 000000005DE4: D8EC4680 76000034
	ds_read_b64 v[120:121], v52 offset:18176                   // 000000005DEC: D8EC4700 78000034
	ds_read_b64 v[122:123], v52 offset:18304                   // 000000005DF4: D8EC4780 7A000034
	ds_read_b64 v[124:125], v52 offset:18432                   // 000000005DFC: D8EC4800 7C000034
	ds_read_b64 v[126:127], v52 offset:18560                   // 000000005E04: D8EC4880 7E000034
	s_waitcnt lgkmcnt(0)                                       // 000000005E0C: BF8CC07F
	v_max3_f32 v22, |v96|, |v98|, v22                          // 000000005E10: D1D30316 045AC560
	v_max3_f32 v23, |v97|, |v99|, v23                          // 000000005E18: D1D30317 045EC761
	v_max3_f32 v22, |v100|, |v102|, v22                        // 000000005E20: D1D30316 045ACD64
	v_max3_f32 v23, |v101|, |v103|, v23                        // 000000005E28: D1D30317 045ECF65
	v_max3_f32 v22, |v104|, |v106|, v22                        // 000000005E30: D1D30316 045AD568
	v_max3_f32 v23, |v105|, |v107|, v23                        // 000000005E38: D1D30317 045ED769
	v_max3_f32 v22, |v108|, |v110|, v22                        // 000000005E40: D1D30316 045ADD6C
	v_max3_f32 v23, |v109|, |v111|, v23                        // 000000005E48: D1D30317 045EDF6D
	v_max3_f32 v22, |v112|, |v114|, v22                        // 000000005E50: D1D30316 045AE570
	v_max3_f32 v23, |v113|, |v115|, v23                        // 000000005E58: D1D30317 045EE771
	v_max3_f32 v22, |v116|, |v118|, v22                        // 000000005E60: D1D30316 045AED74
	v_max3_f32 v23, |v117|, |v119|, v23                        // 000000005E68: D1D30317 045EEF75
	v_max3_f32 v22, |v120|, |v122|, v22                        // 000000005E70: D1D30316 045AF578
	v_max3_f32 v23, |v121|, |v123|, v23                        // 000000005E78: D1D30317 045EF779
	v_max3_f32 v22, |v124|, |v126|, v22                        // 000000005E80: D1D30316 045AFD7C
	v_max3_f32 v23, |v125|, |v127|, v23                        // 000000005E88: D1D30317 045EFF7D
	v_rcp_f32_e32 v22, v22                                     // 000000005E90: 7E2C4516
	v_rcp_f32_e32 v23, v23                                     // 000000005E94: 7E2E4517
	v_mov_b32_e32 v52, 0x43700000                              // 000000005E98: 7E6802FF 43700000
	v_mul_f32_e32 v22, v52, v22                                // 000000005EA0: 0A2C2D34
	v_mul_f32_e32 v23, v52, v23                                // 000000005EA4: 0A2E2F34
	v_mul_f32_e32 v128, v22, v128                              // 000000005EA8: 0B010116
	v_mul_f32_e32 v129, v22, v129                              // 000000005EAC: 0B030316
	v_mul_f32_e32 v130, v22, v130                              // 000000005EB0: 0B050516
	v_mul_f32_e32 v131, v22, v131                              // 000000005EB4: 0B070716
	v_cvt_pk_fp8_f32 v128, v128, v129                          // 000000005EB8: D2A20080 00030380
	v_cvt_pk_fp8_f32 v128, v130, v131 op_sel:[0,0,1]           // 000000005EC0: D2A24080 00030782
	v_mul_f32_e32 v132, v23, v132                              // 000000005EC8: 0B090917
	v_mul_f32_e32 v133, v23, v133                              // 000000005ECC: 0B0B0B17
	v_mul_f32_e32 v134, v23, v134                              // 000000005ED0: 0B0D0D17
	v_mul_f32_e32 v135, v23, v135                              // 000000005ED4: 0B0F0F17
	v_cvt_pk_fp8_f32 v129, v132, v133                          // 000000005ED8: D2A20081 00030B84
	v_cvt_pk_fp8_f32 v129, v134, v135 op_sel:[0,0,1]           // 000000005EE0: D2A24081 00030F86
	v_mul_f32_e32 v136, v22, v136                              // 000000005EE8: 0B111116
	v_mul_f32_e32 v137, v22, v137                              // 000000005EEC: 0B131316
	v_mul_f32_e32 v138, v22, v138                              // 000000005EF0: 0B151516
	v_mul_f32_e32 v139, v22, v139                              // 000000005EF4: 0B171716
	v_cvt_pk_fp8_f32 v130, v136, v137                          // 000000005EF8: D2A20082 00031388
	v_cvt_pk_fp8_f32 v130, v138, v139 op_sel:[0,0,1]           // 000000005F00: D2A24082 0003178A
	v_mul_f32_e32 v140, v23, v140                              // 000000005F08: 0B191917
	v_mul_f32_e32 v141, v23, v141                              // 000000005F0C: 0B1B1B17
	v_mul_f32_e32 v142, v23, v142                              // 000000005F10: 0B1D1D17
	v_mul_f32_e32 v143, v23, v143                              // 000000005F14: 0B1F1F17
	v_cvt_pk_fp8_f32 v131, v140, v141                          // 000000005F18: D2A20083 00031B8C
	v_cvt_pk_fp8_f32 v131, v142, v143 op_sel:[0,0,1]           // 000000005F20: D2A24083 00031F8E
	v_mul_f32_e32 v144, v22, v144                              // 000000005F28: 0B212116
	v_mul_f32_e32 v145, v22, v145                              // 000000005F2C: 0B232316
	v_mul_f32_e32 v146, v22, v146                              // 000000005F30: 0B252516
	v_mul_f32_e32 v147, v22, v147                              // 000000005F34: 0B272716
	v_cvt_pk_fp8_f32 v132, v144, v145                          // 000000005F38: D2A20084 00032390
	v_cvt_pk_fp8_f32 v132, v146, v147 op_sel:[0,0,1]           // 000000005F40: D2A24084 00032792
	v_mul_f32_e32 v148, v23, v148                              // 000000005F48: 0B292917
	v_mul_f32_e32 v149, v23, v149                              // 000000005F4C: 0B2B2B17
	v_mul_f32_e32 v150, v23, v150                              // 000000005F50: 0B2D2D17
	v_mul_f32_e32 v151, v23, v151                              // 000000005F54: 0B2F2F17
	v_cvt_pk_fp8_f32 v133, v148, v149                          // 000000005F58: D2A20085 00032B94
	v_cvt_pk_fp8_f32 v133, v150, v151 op_sel:[0,0,1]           // 000000005F60: D2A24085 00032F96
	v_mul_f32_e32 v152, v22, v152                              // 000000005F68: 0B313116
	v_mul_f32_e32 v153, v22, v153                              // 000000005F6C: 0B333316
	v_mul_f32_e32 v154, v22, v154                              // 000000005F70: 0B353516
	v_mul_f32_e32 v155, v22, v155                              // 000000005F74: 0B373716
	v_cvt_pk_fp8_f32 v134, v152, v153                          // 000000005F78: D2A20086 00033398
	v_cvt_pk_fp8_f32 v134, v154, v155 op_sel:[0,0,1]           // 000000005F80: D2A24086 0003379A
	v_mul_f32_e32 v156, v23, v156                              // 000000005F88: 0B393917
	v_mul_f32_e32 v157, v23, v157                              // 000000005F8C: 0B3B3B17
	v_mul_f32_e32 v158, v23, v158                              // 000000005F90: 0B3D3D17
	v_mul_f32_e32 v159, v23, v159                              // 000000005F94: 0B3F3F17
	v_cvt_pk_fp8_f32 v135, v156, v157                          // 000000005F98: D2A20087 00033B9C
	v_cvt_pk_fp8_f32 v135, v158, v159 op_sel:[0,0,1]           // 000000005FA0: D2A24087 00033F9E
	v_mul_f32_e32 v160, v22, v160                              // 000000005FA8: 0B414116
	v_mul_f32_e32 v161, v22, v161                              // 000000005FAC: 0B434316
	v_mul_f32_e32 v162, v22, v162                              // 000000005FB0: 0B454516
	v_mul_f32_e32 v163, v22, v163                              // 000000005FB4: 0B474716
	v_cvt_pk_fp8_f32 v136, v160, v161                          // 000000005FB8: D2A20088 000343A0
	v_cvt_pk_fp8_f32 v136, v162, v163 op_sel:[0,0,1]           // 000000005FC0: D2A24088 000347A2
	v_mul_f32_e32 v164, v23, v164                              // 000000005FC8: 0B494917
	v_mul_f32_e32 v165, v23, v165                              // 000000005FCC: 0B4B4B17
	v_mul_f32_e32 v166, v23, v166                              // 000000005FD0: 0B4D4D17
	v_mul_f32_e32 v167, v23, v167                              // 000000005FD4: 0B4F4F17
	v_cvt_pk_fp8_f32 v137, v164, v165                          // 000000005FD8: D2A20089 00034BA4
	v_cvt_pk_fp8_f32 v137, v166, v167 op_sel:[0,0,1]           // 000000005FE0: D2A24089 00034FA6
	v_mul_f32_e32 v168, v22, v168                              // 000000005FE8: 0B515116
	v_mul_f32_e32 v169, v22, v169                              // 000000005FEC: 0B535316
	v_mul_f32_e32 v170, v22, v170                              // 000000005FF0: 0B555516
	v_mul_f32_e32 v171, v22, v171                              // 000000005FF4: 0B575716
	v_cvt_pk_fp8_f32 v138, v168, v169                          // 000000005FF8: D2A2008A 000353A8
	v_cvt_pk_fp8_f32 v138, v170, v171 op_sel:[0,0,1]           // 000000006000: D2A2408A 000357AA
	v_mul_f32_e32 v172, v23, v172                              // 000000006008: 0B595917
	v_mul_f32_e32 v173, v23, v173                              // 00000000600C: 0B5B5B17
	v_mul_f32_e32 v174, v23, v174                              // 000000006010: 0B5D5D17
	v_mul_f32_e32 v175, v23, v175                              // 000000006014: 0B5F5F17
	v_cvt_pk_fp8_f32 v139, v172, v173                          // 000000006018: D2A2008B 00035BAC
	v_cvt_pk_fp8_f32 v139, v174, v175 op_sel:[0,0,1]           // 000000006020: D2A2408B 00035FAE
	v_mul_f32_e32 v176, v22, v176                              // 000000006028: 0B616116
	v_mul_f32_e32 v177, v22, v177                              // 00000000602C: 0B636316
	v_mul_f32_e32 v178, v22, v178                              // 000000006030: 0B656516
	v_mul_f32_e32 v179, v22, v179                              // 000000006034: 0B676716
	v_cvt_pk_fp8_f32 v140, v176, v177                          // 000000006038: D2A2008C 000363B0
	v_cvt_pk_fp8_f32 v140, v178, v179 op_sel:[0,0,1]           // 000000006040: D2A2408C 000367B2
	v_mul_f32_e32 v180, v23, v180                              // 000000006048: 0B696917
	v_mul_f32_e32 v181, v23, v181                              // 00000000604C: 0B6B6B17
	v_mul_f32_e32 v182, v23, v182                              // 000000006050: 0B6D6D17
	v_mul_f32_e32 v183, v23, v183                              // 000000006054: 0B6F6F17
	v_cvt_pk_fp8_f32 v141, v180, v181                          // 000000006058: D2A2008D 00036BB4
	v_cvt_pk_fp8_f32 v141, v182, v183 op_sel:[0,0,1]           // 000000006060: D2A2408D 00036FB6
	v_mul_f32_e32 v184, v22, v184                              // 000000006068: 0B717116
	v_mul_f32_e32 v185, v22, v185                              // 00000000606C: 0B737316
	v_mul_f32_e32 v186, v22, v186                              // 000000006070: 0B757516
	v_mul_f32_e32 v187, v22, v187                              // 000000006074: 0B777716
	v_cvt_pk_fp8_f32 v142, v184, v185                          // 000000006078: D2A2008E 000373B8
	v_cvt_pk_fp8_f32 v142, v186, v187 op_sel:[0,0,1]           // 000000006080: D2A2408E 000377BA
	v_mul_f32_e32 v188, v23, v188                              // 000000006088: 0B797917
	v_mul_f32_e32 v189, v23, v189                              // 00000000608C: 0B7B7B17
	v_mul_f32_e32 v190, v23, v190                              // 000000006090: 0B7D7D17
	v_mul_f32_e32 v191, v23, v191                              // 000000006094: 0B7F7F17
	v_cvt_pk_fp8_f32 v143, v188, v189                          // 000000006098: D2A2008F 00037BBC
	v_cvt_pk_fp8_f32 v143, v190, v191 op_sel:[0,0,1]           // 0000000060A0: D2A2408F 00037FBE
	v_rcp_f32_e32 v24, v22                                     // 0000000060A8: 7E304516
	v_rcp_f32_e32 v25, v23                                     // 0000000060AC: 7E324517
	v_lshrrev_b32_e32 v52, 5, v0                               // 0000000060B0: 20680085
	v_lshlrev_b32_e32 v53, 5, v52                              // 0000000060B4: 246A6885
	v_and_b32_e32 v52, 31, v0                                  // 0000000060B8: 2668009F
	v_lshrrev_b32_e32 v54, 4, v52                              // 0000000060BC: 206C6884
	v_add_u32_e32 v53, v54, v53                                // 0000000060C0: 686A6B36
	v_and_b32_e32 v52, 15, v0                                  // 0000000060C4: 2668008F
	v_lshlrev_b32_e32 v52, 1, v52                              // 0000000060C8: 24686881
	v_add_u32_e32 v53, v52, v53                                // 0000000060CC: 686A6B34
	v_lshlrev_b32_e32 v52, 2, v53                              // 0000000060D0: 24686A82
	s_mul_i32 s60, 0x100, s7                                   // 0000000060D4: 923C07FF 00000100
	v_add_u32_e64 v52, v52, s60                                // 0000000060DC: D1340034 00007934
	ds_write_b32 v52, v128 offset:18688                        // 0000000060E4: D81A4900 00008034
	ds_write_b32 v52, v129 offset:26880                        // 0000000060EC: D81A6900 00008134
	ds_write_b32 v52, v130 offset:19712                        // 0000000060F4: D81A4D00 00008234
	ds_write_b32 v52, v131 offset:27904                        // 0000000060FC: D81A6D00 00008334
	ds_write_b32 v52, v132 offset:20736                        // 000000006104: D81A5100 00008434
	ds_write_b32 v52, v133 offset:28928                        // 00000000610C: D81A7100 00008534
	ds_write_b32 v52, v134 offset:21760                        // 000000006114: D81A5500 00008634
	ds_write_b32 v52, v135 offset:29952                        // 00000000611C: D81A7500 00008734
	ds_write_b32 v52, v136 offset:22784                        // 000000006124: D81A5900 00008834
	ds_write_b32 v52, v137 offset:30976                        // 00000000612C: D81A7900 00008934
	ds_write_b32 v52, v138 offset:23808                        // 000000006134: D81A5D00 00008A34
	ds_write_b32 v52, v139 offset:32000                        // 00000000613C: D81A7D00 00008B34
	ds_write_b32 v52, v140 offset:24832                        // 000000006144: D81A6100 00008C34
	ds_write_b32 v52, v141 offset:33024                        // 00000000614C: D81A8100 00008D34
	ds_write_b32 v52, v142 offset:25856                        // 000000006154: D81A6500 00008E34
	ds_write_b32 v52, v143 offset:34048                        // 00000000615C: D81A8500 00008F34
	s_waitcnt lgkmcnt(0)                                       // 000000006164: BF8CC07F
	s_barrier                                                  // 000000006168: BF8A0000
	v_lshrrev_b32_e32 v52, 4, v0                               // 00000000616C: 20680084
	v_lshlrev_b32_e32 v53, 6, v52                              // 000000006170: 246A6886
	v_and_b32_e32 v52, 15, v0                                  // 000000006174: 2668008F
	v_lshlrev_b32_e32 v52, 1, v52                              // 000000006178: 24686881
	v_add_u32_e32 v53, v52, v53                                // 00000000617C: 686A6B34
	v_lshlrev_b32_e32 v52, 2, v53                              // 000000006180: 24686A82
	ds_read_b64 v[128:129], v52 offset:18688                   // 000000006184: D8EC4900 80000034
	ds_read_b64 v[130:131], v52 offset:18816                   // 00000000618C: D8EC4980 82000034
	ds_read_b64 v[132:133], v52 offset:19712                   // 000000006194: D8EC4D00 84000034
	ds_read_b64 v[134:135], v52 offset:19840                   // 00000000619C: D8EC4D80 86000034
	ds_read_b64 v[136:137], v52 offset:20736                   // 0000000061A4: D8EC5100 88000034
	ds_read_b64 v[138:139], v52 offset:20864                   // 0000000061AC: D8EC5180 8A000034
	ds_read_b64 v[140:141], v52 offset:21760                   // 0000000061B4: D8EC5500 8C000034
	ds_read_b64 v[142:143], v52 offset:21888                   // 0000000061BC: D8EC5580 8E000034
	ds_read_b64 v[144:145], v52 offset:22784                   // 0000000061C4: D8EC5900 90000034
	ds_read_b64 v[146:147], v52 offset:22912                   // 0000000061CC: D8EC5980 92000034
	ds_read_b64 v[148:149], v52 offset:23808                   // 0000000061D4: D8EC5D00 94000034
	ds_read_b64 v[150:151], v52 offset:23936                   // 0000000061DC: D8EC5D80 96000034
	ds_read_b64 v[152:153], v52 offset:24832                   // 0000000061E4: D8EC6100 98000034
	ds_read_b64 v[154:155], v52 offset:24960                   // 0000000061EC: D8EC6180 9A000034
	ds_read_b64 v[156:157], v52 offset:25856                   // 0000000061F4: D8EC6500 9C000034
	ds_read_b64 v[158:159], v52 offset:25984                   // 0000000061FC: D8EC6580 9E000034
	ds_read_b64 v[160:161], v52 offset:26880                   // 000000006204: D8EC6900 A0000034
	ds_read_b64 v[162:163], v52 offset:27008                   // 00000000620C: D8EC6980 A2000034
	ds_read_b64 v[164:165], v52 offset:27904                   // 000000006214: D8EC6D00 A4000034
	ds_read_b64 v[166:167], v52 offset:28032                   // 00000000621C: D8EC6D80 A6000034
	ds_read_b64 v[168:169], v52 offset:28928                   // 000000006224: D8EC7100 A8000034
	ds_read_b64 v[170:171], v52 offset:29056                   // 00000000622C: D8EC7180 AA000034
	ds_read_b64 v[172:173], v52 offset:29952                   // 000000006234: D8EC7500 AC000034
	ds_read_b64 v[174:175], v52 offset:30080                   // 00000000623C: D8EC7580 AE000034
	ds_read_b64 v[176:177], v52 offset:30976                   // 000000006244: D8EC7900 B0000034
	ds_read_b64 v[178:179], v52 offset:31104                   // 00000000624C: D8EC7980 B2000034
	ds_read_b64 v[180:181], v52 offset:32000                   // 000000006254: D8EC7D00 B4000034
	ds_read_b64 v[182:183], v52 offset:32128                   // 00000000625C: D8EC7D80 B6000034
	ds_read_b64 v[184:185], v52 offset:33024                   // 000000006264: D8EC8100 B8000034
	ds_read_b64 v[186:187], v52 offset:33152                   // 00000000626C: D8EC8180 BA000034
	ds_read_b64 v[188:189], v52 offset:34048                   // 000000006274: D8EC8500 BC000034
	ds_read_b64 v[190:191], v52 offset:34176                   // 00000000627C: D8EC8580 BE000034
	s_add_u32 s12, s56, s12                                    // 000000006284: 800C0C38
	s_addc_u32 s13, 0, s13                                     // 000000006288: 820D0D80
	s_add_u32 s16, s79, s16                                    // 00000000628C: 8010104F
	s_addc_u32 s17, 0, s17                                     // 000000006290: 82111180
	s_mov_b32 s80, 0                                           // 000000006294: BED00080
	s_waitcnt vmcnt(0) expcnt(0) lgkmcnt(0)                    // 000000006298: BF8C0000

000000000000629c <label_0DE7>:
	s_waitcnt vmcnt(45)                                        // 00000000629C: BF8C8F7D
	s_barrier                                                  // 0000000062A0: BF8A0000
	v_mfma_f32_16x16x32_fp8_fp8 v[192:195], a[0:1], v[128:129], 0// 0000000062A4: D3F300C0 0A030100
	v_mfma_f32_16x16x32_fp8_fp8 v[192:195], a[2:3], v[130:131], v[192:195]// 0000000062AC: D3F300C0 0F030502
	buffer_load_dwordx4 a[128:131], v42, s[12:15], 0 offen     // 0000000062B4: E05C1000 8083802A
	v_mfma_f32_16x16x32_fp8_fp8 v[196:199], a[0:1], v[160:161], 0// 0000000062BC: D3F300C4 0A034100
	v_mfma_f32_16x16x32_fp8_fp8 v[196:199], a[2:3], v[162:163], v[196:199]// 0000000062C4: D3F300C4 0F134502
	v_mfma_f32_16x16x32_fp8_fp8 v[200:203], a[4:5], v[128:129], 0// 0000000062CC: D3F300C8 0A030104
	v_mfma_f32_16x16x32_fp8_fp8 v[200:203], a[6:7], v[130:131], v[200:203]// 0000000062D4: D3F300C8 0F230506
	buffer_load_dwordx4 a[132:135], v43, s[12:15], 0 offen     // 0000000062DC: E05C1000 8083842B
	v_mfma_f32_16x16x32_fp8_fp8 v[204:207], a[4:5], v[160:161], 0// 0000000062E4: D3F300CC 0A034104
	v_mfma_f32_16x16x32_fp8_fp8 v[204:207], a[6:7], v[162:163], v[204:207]// 0000000062EC: D3F300CC 0F334506
	v_mfma_f32_16x16x32_fp8_fp8 v[208:211], a[8:9], v[128:129], 0// 0000000062F4: D3F300D0 0A030108
	v_mfma_f32_16x16x32_fp8_fp8 v[208:211], a[10:11], v[130:131], v[208:211]// 0000000062FC: D3F300D0 0F43050A
	buffer_load_dwordx4 a[136:139], v44, s[12:15], 0 offen     // 000000006304: E05C1000 8083882C
	v_mfma_f32_16x16x32_fp8_fp8 v[212:215], a[8:9], v[160:161], 0// 00000000630C: D3F300D4 0A034108
	v_mfma_f32_16x16x32_fp8_fp8 v[212:215], a[10:11], v[162:163], v[212:215]// 000000006314: D3F300D4 0F53450A
	v_mfma_f32_16x16x32_fp8_fp8 v[216:219], a[12:13], v[128:129], 0// 00000000631C: D3F300D8 0A03010C
	v_mfma_f32_16x16x32_fp8_fp8 v[216:219], a[14:15], v[130:131], v[216:219]// 000000006324: D3F300D8 0F63050E
	buffer_load_dwordx4 a[140:143], v45, s[12:15], 0 offen     // 00000000632C: E05C1000 80838C2D
	s_add_u32 s12, s78, s12                                    // 000000006334: 800C0C4E
	s_addc_u32 s13, 0, s13                                     // 000000006338: 820D0D80
	v_mfma_f32_16x16x32_fp8_fp8 v[220:223], a[12:13], v[160:161], 0// 00000000633C: D3F300DC 0A03410C
	v_mfma_f32_16x16x32_fp8_fp8 v[220:223], a[14:15], v[162:163], v[220:223]// 000000006344: D3F300DC 0F73450E
	s_waitcnt vmcnt(45)                                        // 00000000634C: BF8C8F7D
	v_mfma_f32_16x16x32_fp8_fp8 v[192:195], a[16:17], v[132:133], v[192:195]// 000000006350: D3F300C0 0F030910
	v_mfma_f32_16x16x32_fp8_fp8 v[192:195], a[18:19], v[134:135], v[192:195]// 000000006358: D3F300C0 0F030D12
	buffer_load_dwordx4 a[144:147], v42, s[12:15], 0 offen     // 000000006360: E05C1000 8083902A
	v_mfma_f32_16x16x32_fp8_fp8 v[196:199], a[16:17], v[164:165], v[196:199]// 000000006368: D3F300C4 0F134910
	v_mfma_f32_16x16x32_fp8_fp8 v[196:199], a[18:19], v[166:167], v[196:199]// 000000006370: D3F300C4 0F134D12
	v_mfma_f32_16x16x32_fp8_fp8 v[200:203], a[20:21], v[132:133], v[200:203]// 000000006378: D3F300C8 0F230914
	v_mfma_f32_16x16x32_fp8_fp8 v[200:203], a[22:23], v[134:135], v[200:203]// 000000006380: D3F300C8 0F230D16
	buffer_load_dwordx4 a[148:151], v43, s[12:15], 0 offen     // 000000006388: E05C1000 8083942B
	v_mfma_f32_16x16x32_fp8_fp8 v[204:207], a[20:21], v[164:165], v[204:207]// 000000006390: D3F300CC 0F334914
	v_mfma_f32_16x16x32_fp8_fp8 v[204:207], a[22:23], v[166:167], v[204:207]// 000000006398: D3F300CC 0F334D16
	v_mfma_f32_16x16x32_fp8_fp8 v[208:211], a[24:25], v[132:133], v[208:211]// 0000000063A0: D3F300D0 0F430918
	v_mfma_f32_16x16x32_fp8_fp8 v[208:211], a[26:27], v[134:135], v[208:211]// 0000000063A8: D3F300D0 0F430D1A
	buffer_load_dwordx4 a[152:155], v44, s[12:15], 0 offen     // 0000000063B0: E05C1000 8083982C
	v_mfma_f32_16x16x32_fp8_fp8 v[212:215], a[24:25], v[164:165], v[212:215]// 0000000063B8: D3F300D4 0F534918
	v_mfma_f32_16x16x32_fp8_fp8 v[212:215], a[26:27], v[166:167], v[212:215]// 0000000063C0: D3F300D4 0F534D1A
	v_mfma_f32_16x16x32_fp8_fp8 v[216:219], a[28:29], v[132:133], v[216:219]// 0000000063C8: D3F300D8 0F63091C
	v_mfma_f32_16x16x32_fp8_fp8 v[216:219], a[30:31], v[134:135], v[216:219]// 0000000063D0: D3F300D8 0F630D1E
	buffer_load_dwordx4 a[156:159], v45, s[12:15], 0 offen     // 0000000063D8: E05C1000 80839C2D
	s_add_u32 s12, s78, s12                                    // 0000000063E0: 800C0C4E
	s_addc_u32 s13, 0, s13                                     // 0000000063E4: 820D0D80
	v_mfma_f32_16x16x32_fp8_fp8 v[220:223], a[28:29], v[164:165], v[220:223]// 0000000063E8: D3F300DC 0F73491C
	v_mfma_f32_16x16x32_fp8_fp8 v[220:223], a[30:31], v[166:167], v[220:223]// 0000000063F0: D3F300DC 0F734D1E
	s_waitcnt vmcnt(45)                                        // 0000000063F8: BF8C8F7D
	v_mfma_f32_16x16x32_fp8_fp8 v[192:195], a[32:33], v[136:137], v[192:195]// 0000000063FC: D3F300C0 0F031120
	v_mfma_f32_16x16x32_fp8_fp8 v[192:195], a[34:35], v[138:139], v[192:195]// 000000006404: D3F300C0 0F031522
	buffer_load_dwordx4 a[160:163], v42, s[12:15], 0 offen     // 00000000640C: E05C1000 8083A02A
	v_mfma_f32_16x16x32_fp8_fp8 v[196:199], a[32:33], v[168:169], v[196:199]// 000000006414: D3F300C4 0F135120
	v_mfma_f32_16x16x32_fp8_fp8 v[196:199], a[34:35], v[170:171], v[196:199]// 00000000641C: D3F300C4 0F135522
	v_mfma_f32_16x16x32_fp8_fp8 v[200:203], a[36:37], v[136:137], v[200:203]// 000000006424: D3F300C8 0F231124
	v_mfma_f32_16x16x32_fp8_fp8 v[200:203], a[38:39], v[138:139], v[200:203]// 00000000642C: D3F300C8 0F231526
	buffer_load_dwordx4 a[164:167], v43, s[12:15], 0 offen     // 000000006434: E05C1000 8083A42B
	v_mfma_f32_16x16x32_fp8_fp8 v[204:207], a[36:37], v[168:169], v[204:207]// 00000000643C: D3F300CC 0F335124
	v_mfma_f32_16x16x32_fp8_fp8 v[204:207], a[38:39], v[170:171], v[204:207]// 000000006444: D3F300CC 0F335526
	v_mfma_f32_16x16x32_fp8_fp8 v[208:211], a[40:41], v[136:137], v[208:211]// 00000000644C: D3F300D0 0F431128
	v_mfma_f32_16x16x32_fp8_fp8 v[208:211], a[42:43], v[138:139], v[208:211]// 000000006454: D3F300D0 0F43152A
	buffer_load_dwordx4 a[168:171], v44, s[12:15], 0 offen     // 00000000645C: E05C1000 8083A82C
	v_mfma_f32_16x16x32_fp8_fp8 v[212:215], a[40:41], v[168:169], v[212:215]// 000000006464: D3F300D4 0F535128
	v_mfma_f32_16x16x32_fp8_fp8 v[212:215], a[42:43], v[170:171], v[212:215]// 00000000646C: D3F300D4 0F53552A
	v_mfma_f32_16x16x32_fp8_fp8 v[216:219], a[44:45], v[136:137], v[216:219]// 000000006474: D3F300D8 0F63112C
	v_mfma_f32_16x16x32_fp8_fp8 v[216:219], a[46:47], v[138:139], v[216:219]// 00000000647C: D3F300D8 0F63152E
	buffer_load_dwordx4 a[172:175], v45, s[12:15], 0 offen     // 000000006484: E05C1000 8083AC2D
	s_add_u32 s12, s78, s12                                    // 00000000648C: 800C0C4E
	s_addc_u32 s13, 0, s13                                     // 000000006490: 820D0D80
	v_mfma_f32_16x16x32_fp8_fp8 v[220:223], a[44:45], v[168:169], v[220:223]// 000000006494: D3F300DC 0F73512C
	v_mfma_f32_16x16x32_fp8_fp8 v[220:223], a[46:47], v[170:171], v[220:223]// 00000000649C: D3F300DC 0F73552E
	s_waitcnt vmcnt(45)                                        // 0000000064A4: BF8C8F7D
	v_mfma_f32_16x16x32_fp8_fp8 v[192:195], a[48:49], v[140:141], v[192:195]// 0000000064A8: D3F300C0 0F031930
	v_mfma_f32_16x16x32_fp8_fp8 v[192:195], a[50:51], v[142:143], v[192:195]// 0000000064B0: D3F300C0 0F031D32
	buffer_load_dwordx4 a[176:179], v42, s[12:15], 0 offen     // 0000000064B8: E05C1000 8083B02A
	v_mfma_f32_16x16x32_fp8_fp8 v[196:199], a[48:49], v[172:173], v[196:199]// 0000000064C0: D3F300C4 0F135930
	v_mfma_f32_16x16x32_fp8_fp8 v[196:199], a[50:51], v[174:175], v[196:199]// 0000000064C8: D3F300C4 0F135D32
	v_mfma_f32_16x16x32_fp8_fp8 v[200:203], a[52:53], v[140:141], v[200:203]// 0000000064D0: D3F300C8 0F231934
	v_mfma_f32_16x16x32_fp8_fp8 v[200:203], a[54:55], v[142:143], v[200:203]// 0000000064D8: D3F300C8 0F231D36
	buffer_load_dwordx4 a[180:183], v43, s[12:15], 0 offen     // 0000000064E0: E05C1000 8083B42B
	v_mfma_f32_16x16x32_fp8_fp8 v[204:207], a[52:53], v[172:173], v[204:207]// 0000000064E8: D3F300CC 0F335934
	v_mfma_f32_16x16x32_fp8_fp8 v[204:207], a[54:55], v[174:175], v[204:207]// 0000000064F0: D3F300CC 0F335D36
	v_mfma_f32_16x16x32_fp8_fp8 v[208:211], a[56:57], v[140:141], v[208:211]// 0000000064F8: D3F300D0 0F431938
	v_mfma_f32_16x16x32_fp8_fp8 v[208:211], a[58:59], v[142:143], v[208:211]// 000000006500: D3F300D0 0F431D3A
	buffer_load_dwordx4 a[184:187], v44, s[12:15], 0 offen     // 000000006508: E05C1000 8083B82C
	v_mfma_f32_16x16x32_fp8_fp8 v[212:215], a[56:57], v[172:173], v[212:215]// 000000006510: D3F300D4 0F535938
	v_mfma_f32_16x16x32_fp8_fp8 v[212:215], a[58:59], v[174:175], v[212:215]// 000000006518: D3F300D4 0F535D3A
	v_mfma_f32_16x16x32_fp8_fp8 v[216:219], a[60:61], v[140:141], v[216:219]// 000000006520: D3F300D8 0F63193C
	v_mfma_f32_16x16x32_fp8_fp8 v[216:219], a[62:63], v[142:143], v[216:219]// 000000006528: D3F300D8 0F631D3E
	buffer_load_dwordx4 a[188:191], v45, s[12:15], 0 offen     // 000000006530: E05C1000 8083BC2D
	s_add_u32 s12, s78, s12                                    // 000000006538: 800C0C4E
	s_addc_u32 s13, 0, s13                                     // 00000000653C: 820D0D80
	v_mfma_f32_16x16x32_fp8_fp8 v[220:223], a[60:61], v[172:173], v[220:223]// 000000006540: D3F300DC 0F73593C
	v_mfma_f32_16x16x32_fp8_fp8 v[220:223], a[62:63], v[174:175], v[220:223]// 000000006548: D3F300DC 0F735D3E
	s_waitcnt vmcnt(45)                                        // 000000006550: BF8C8F7D
	v_mfma_f32_16x16x32_fp8_fp8 v[192:195], a[64:65], v[144:145], v[192:195]// 000000006554: D3F300C0 0F032140
	v_mfma_f32_16x16x32_fp8_fp8 v[192:195], a[66:67], v[146:147], v[192:195]// 00000000655C: D3F300C0 0F032542
	buffer_load_dwordx4 a[192:195], v42, s[12:15], 0 offen     // 000000006564: E05C1000 8083C02A
	v_mfma_f32_16x16x32_fp8_fp8 v[196:199], a[64:65], v[176:177], v[196:199]// 00000000656C: D3F300C4 0F136140
	v_mfma_f32_16x16x32_fp8_fp8 v[196:199], a[66:67], v[178:179], v[196:199]// 000000006574: D3F300C4 0F136542
	v_mfma_f32_16x16x32_fp8_fp8 v[200:203], a[68:69], v[144:145], v[200:203]// 00000000657C: D3F300C8 0F232144
	v_mfma_f32_16x16x32_fp8_fp8 v[200:203], a[70:71], v[146:147], v[200:203]// 000000006584: D3F300C8 0F232546
	buffer_load_dwordx4 a[196:199], v43, s[12:15], 0 offen     // 00000000658C: E05C1000 8083C42B
	v_mfma_f32_16x16x32_fp8_fp8 v[204:207], a[68:69], v[176:177], v[204:207]// 000000006594: D3F300CC 0F336144
	v_mfma_f32_16x16x32_fp8_fp8 v[204:207], a[70:71], v[178:179], v[204:207]// 00000000659C: D3F300CC 0F336546
	v_mfma_f32_16x16x32_fp8_fp8 v[208:211], a[72:73], v[144:145], v[208:211]// 0000000065A4: D3F300D0 0F432148
	v_mfma_f32_16x16x32_fp8_fp8 v[208:211], a[74:75], v[146:147], v[208:211]// 0000000065AC: D3F300D0 0F43254A
	buffer_load_dwordx4 a[200:203], v44, s[12:15], 0 offen     // 0000000065B4: E05C1000 8083C82C
	v_mfma_f32_16x16x32_fp8_fp8 v[212:215], a[72:73], v[176:177], v[212:215]// 0000000065BC: D3F300D4 0F536148
	v_mfma_f32_16x16x32_fp8_fp8 v[212:215], a[74:75], v[178:179], v[212:215]// 0000000065C4: D3F300D4 0F53654A
	v_mfma_f32_16x16x32_fp8_fp8 v[216:219], a[76:77], v[144:145], v[216:219]// 0000000065CC: D3F300D8 0F63214C
	v_mfma_f32_16x16x32_fp8_fp8 v[216:219], a[78:79], v[146:147], v[216:219]// 0000000065D4: D3F300D8 0F63254E
	buffer_load_dwordx4 a[204:207], v45, s[12:15], 0 offen     // 0000000065DC: E05C1000 8083CC2D
	s_add_u32 s12, s78, s12                                    // 0000000065E4: 800C0C4E
	s_addc_u32 s13, 0, s13                                     // 0000000065E8: 820D0D80
	v_mfma_f32_16x16x32_fp8_fp8 v[220:223], a[76:77], v[176:177], v[220:223]// 0000000065EC: D3F300DC 0F73614C
	v_mfma_f32_16x16x32_fp8_fp8 v[220:223], a[78:79], v[178:179], v[220:223]// 0000000065F4: D3F300DC 0F73654E
	s_waitcnt vmcnt(45)                                        // 0000000065FC: BF8C8F7D
	v_mfma_f32_16x16x32_fp8_fp8 v[192:195], a[80:81], v[148:149], v[192:195]// 000000006600: D3F300C0 0F032950
	v_mfma_f32_16x16x32_fp8_fp8 v[192:195], a[82:83], v[150:151], v[192:195]// 000000006608: D3F300C0 0F032D52
	buffer_load_dwordx4 a[208:211], v42, s[12:15], 0 offen     // 000000006610: E05C1000 8083D02A
	v_mfma_f32_16x16x32_fp8_fp8 v[196:199], a[80:81], v[180:181], v[196:199]// 000000006618: D3F300C4 0F136950
	v_mfma_f32_16x16x32_fp8_fp8 v[196:199], a[82:83], v[182:183], v[196:199]// 000000006620: D3F300C4 0F136D52
	v_mfma_f32_16x16x32_fp8_fp8 v[200:203], a[84:85], v[148:149], v[200:203]// 000000006628: D3F300C8 0F232954
	v_mfma_f32_16x16x32_fp8_fp8 v[200:203], a[86:87], v[150:151], v[200:203]// 000000006630: D3F300C8 0F232D56
	buffer_load_dwordx4 a[212:215], v43, s[12:15], 0 offen     // 000000006638: E05C1000 8083D42B
	v_mfma_f32_16x16x32_fp8_fp8 v[204:207], a[84:85], v[180:181], v[204:207]// 000000006640: D3F300CC 0F336954
	v_mfma_f32_16x16x32_fp8_fp8 v[204:207], a[86:87], v[182:183], v[204:207]// 000000006648: D3F300CC 0F336D56
	v_mfma_f32_16x16x32_fp8_fp8 v[208:211], a[88:89], v[148:149], v[208:211]// 000000006650: D3F300D0 0F432958
	v_mfma_f32_16x16x32_fp8_fp8 v[208:211], a[90:91], v[150:151], v[208:211]// 000000006658: D3F300D0 0F432D5A
	buffer_load_dwordx4 a[216:219], v44, s[12:15], 0 offen     // 000000006660: E05C1000 8083D82C
	v_mfma_f32_16x16x32_fp8_fp8 v[212:215], a[88:89], v[180:181], v[212:215]// 000000006668: D3F300D4 0F536958
	v_mfma_f32_16x16x32_fp8_fp8 v[212:215], a[90:91], v[182:183], v[212:215]// 000000006670: D3F300D4 0F536D5A
	v_mfma_f32_16x16x32_fp8_fp8 v[216:219], a[92:93], v[148:149], v[216:219]// 000000006678: D3F300D8 0F63295C
	v_mfma_f32_16x16x32_fp8_fp8 v[216:219], a[94:95], v[150:151], v[216:219]// 000000006680: D3F300D8 0F632D5E
	buffer_load_dwordx4 a[220:223], v45, s[12:15], 0 offen     // 000000006688: E05C1000 8083DC2D
	s_add_u32 s12, s78, s12                                    // 000000006690: 800C0C4E
	s_addc_u32 s13, 0, s13                                     // 000000006694: 820D0D80
	v_mfma_f32_16x16x32_fp8_fp8 v[220:223], a[92:93], v[180:181], v[220:223]// 000000006698: D3F300DC 0F73695C
	v_mfma_f32_16x16x32_fp8_fp8 v[220:223], a[94:95], v[182:183], v[220:223]// 0000000066A0: D3F300DC 0F736D5E
	s_waitcnt vmcnt(45)                                        // 0000000066A8: BF8C8F7D
	v_mfma_f32_16x16x32_fp8_fp8 v[192:195], a[96:97], v[152:153], v[192:195]// 0000000066AC: D3F300C0 0F033160
	v_mfma_f32_16x16x32_fp8_fp8 v[192:195], a[98:99], v[154:155], v[192:195]// 0000000066B4: D3F300C0 0F033562
	buffer_load_dwordx4 a[224:227], v42, s[12:15], 0 offen     // 0000000066BC: E05C1000 8083E02A
	v_mfma_f32_16x16x32_fp8_fp8 v[196:199], a[96:97], v[184:185], v[196:199]// 0000000066C4: D3F300C4 0F137160
	v_mfma_f32_16x16x32_fp8_fp8 v[196:199], a[98:99], v[186:187], v[196:199]// 0000000066CC: D3F300C4 0F137562
	v_mfma_f32_16x16x32_fp8_fp8 v[200:203], a[100:101], v[152:153], v[200:203]// 0000000066D4: D3F300C8 0F233164
	v_mfma_f32_16x16x32_fp8_fp8 v[200:203], a[102:103], v[154:155], v[200:203]// 0000000066DC: D3F300C8 0F233566
	buffer_load_dwordx4 a[228:231], v43, s[12:15], 0 offen     // 0000000066E4: E05C1000 8083E42B
	v_mfma_f32_16x16x32_fp8_fp8 v[204:207], a[100:101], v[184:185], v[204:207]// 0000000066EC: D3F300CC 0F337164
	v_mfma_f32_16x16x32_fp8_fp8 v[204:207], a[102:103], v[186:187], v[204:207]// 0000000066F4: D3F300CC 0F337566
	v_mfma_f32_16x16x32_fp8_fp8 v[208:211], a[104:105], v[152:153], v[208:211]// 0000000066FC: D3F300D0 0F433168
	v_mfma_f32_16x16x32_fp8_fp8 v[208:211], a[106:107], v[154:155], v[208:211]// 000000006704: D3F300D0 0F43356A
	buffer_load_dwordx4 a[232:235], v44, s[12:15], 0 offen     // 00000000670C: E05C1000 8083E82C
	v_mfma_f32_16x16x32_fp8_fp8 v[212:215], a[104:105], v[184:185], v[212:215]// 000000006714: D3F300D4 0F537168
	v_mfma_f32_16x16x32_fp8_fp8 v[212:215], a[106:107], v[186:187], v[212:215]// 00000000671C: D3F300D4 0F53756A
	v_mfma_f32_16x16x32_fp8_fp8 v[216:219], a[108:109], v[152:153], v[216:219]// 000000006724: D3F300D8 0F63316C
	v_mfma_f32_16x16x32_fp8_fp8 v[216:219], a[110:111], v[154:155], v[216:219]// 00000000672C: D3F300D8 0F63356E
	buffer_load_dwordx4 a[236:239], v45, s[12:15], 0 offen     // 000000006734: E05C1000 8083EC2D
	s_add_u32 s12, s78, s12                                    // 00000000673C: 800C0C4E
	s_addc_u32 s13, 0, s13                                     // 000000006740: 820D0D80
	v_mfma_f32_16x16x32_fp8_fp8 v[220:223], a[108:109], v[184:185], v[220:223]// 000000006744: D3F300DC 0F73716C
	v_mfma_f32_16x16x32_fp8_fp8 v[220:223], a[110:111], v[186:187], v[220:223]// 00000000674C: D3F300DC 0F73756E
	s_waitcnt vmcnt(44)                                        // 000000006754: BF8C8F7C
	v_mfma_f32_16x16x32_fp8_fp8 v[192:195], a[112:113], v[156:157], v[192:195]// 000000006758: D3F300C0 0F033970
	v_mfma_f32_16x16x32_fp8_fp8 v[192:195], a[114:115], v[158:159], v[192:195]// 000000006760: D3F300C0 0F033D72
	buffer_load_dwordx4 a[240:243], v42, s[12:15], 0 offen     // 000000006768: E05C1000 8083F02A
	v_mfma_f32_16x16x32_fp8_fp8 v[196:199], a[112:113], v[188:189], v[196:199]// 000000006770: D3F300C4 0F137970
	v_mfma_f32_16x16x32_fp8_fp8 v[196:199], a[114:115], v[190:191], v[196:199]// 000000006778: D3F300C4 0F137D72
	buffer_load_dword v13, v5, s[16:19], 0 offen               // 000000006780: E0501000 80040D05
	v_mfma_f32_16x16x32_fp8_fp8 v[200:203], a[116:117], v[156:157], v[200:203]// 000000006788: D3F300C8 0F233974
	v_mfma_f32_16x16x32_fp8_fp8 v[200:203], a[118:119], v[158:159], v[200:203]// 000000006790: D3F300C8 0F233D76
	buffer_load_dwordx4 a[244:247], v43, s[12:15], 0 offen     // 000000006798: E05C1000 8083F42B
	v_mfma_f32_16x16x32_fp8_fp8 v[204:207], a[116:117], v[188:189], v[204:207]// 0000000067A0: D3F300CC 0F337974
	v_mfma_f32_16x16x32_fp8_fp8 v[204:207], a[118:119], v[190:191], v[204:207]// 0000000067A8: D3F300CC 0F337D76
	v_mfma_f32_16x16x32_fp8_fp8 v[208:211], a[120:121], v[156:157], v[208:211]// 0000000067B0: D3F300D0 0F433978
	v_mfma_f32_16x16x32_fp8_fp8 v[208:211], a[122:123], v[158:159], v[208:211]// 0000000067B8: D3F300D0 0F433D7A
	buffer_load_dwordx4 a[248:251], v44, s[12:15], 0 offen     // 0000000067C0: E05C1000 8083F82C
	v_mfma_f32_16x16x32_fp8_fp8 v[212:215], a[120:121], v[188:189], v[212:215]// 0000000067C8: D3F300D4 0F537978
	v_mfma_f32_16x16x32_fp8_fp8 v[212:215], a[122:123], v[190:191], v[212:215]// 0000000067D0: D3F300D4 0F537D7A
	v_mfma_f32_16x16x32_fp8_fp8 v[216:219], a[124:125], v[156:157], v[216:219]// 0000000067D8: D3F300D8 0F63397C
	v_mfma_f32_16x16x32_fp8_fp8 v[216:219], a[126:127], v[158:159], v[216:219]// 0000000067E0: D3F300D8 0F633D7E
	buffer_load_dwordx4 a[252:255], v45, s[12:15], 0 offen     // 0000000067E8: E05C1000 8083FC2D
	v_mfma_f32_16x16x32_fp8_fp8 v[220:223], a[124:125], v[188:189], v[220:223]// 0000000067F0: D3F300DC 0F73797C
	v_mfma_f32_16x16x32_fp8_fp8 v[220:223], a[126:127], v[190:191], v[220:223]// 0000000067F8: D3F300DC 0F737D7E
	s_add_u32 s60, 0x200, s80                                  // 000000006800: 803C50FF 00000200
	s_cmp_lt_u32 s60, s81                                      // 000000006808: BF0A513C
	s_cselect_b32 s56, s56, 0                                  // 00000000680C: 85388038
	s_cselect_b32 s78, s78, 0                                  // 000000006810: 854E804E
	s_cselect_b32 s79, s79, 0                                  // 000000006814: 854F804F
	s_add_u32 s12, s56, s12                                    // 000000006818: 800C0C38
	s_addc_u32 s13, 0, s13                                     // 00000000681C: 820D0D80
	s_add_u32 s16, s79, s16                                    // 000000006820: 8010104F
	s_addc_u32 s17, 0, s17                                     // 000000006824: 82111180
	v_mul_f32_e32 v192, v24, v192                              // 000000006828: 0B818118
	v_mul_f32_e32 v193, v24, v193                              // 00000000682C: 0B838318
	v_mul_f32_e32 v194, v24, v194                              // 000000006830: 0B858518
	v_mul_f32_e32 v195, v24, v195                              // 000000006834: 0B878718
	v_mul_f32_dpp v192, v12, v192 row_newbcast:0 row_mask:0xf bank_mask:0xf// 000000006838: 0B8180FA FF01500C
	v_mul_f32_dpp v193, v12, v193 row_newbcast:1 row_mask:0xf bank_mask:0xf// 000000006840: 0B8382FA FF01510C
	v_mul_f32_dpp v194, v12, v194 row_newbcast:2 row_mask:0xf bank_mask:0xf// 000000006848: 0B8584FA FF01520C
	v_mul_f32_dpp v195, v12, v195 row_newbcast:3 row_mask:0xf bank_mask:0xf// 000000006850: 0B8786FA FF01530C
	v_mul_f32_e32 v192, v20, v192                              // 000000006858: 0B818114
	v_mul_f32_e32 v193, v20, v193                              // 00000000685C: 0B838314
	v_mul_f32_e32 v194, v20, v194                              // 000000006860: 0B858514
	v_mul_f32_e32 v195, v20, v195                              // 000000006864: 0B878714
	v_mul_f32_e32 v196, v25, v196                              // 000000006868: 0B898919
	v_mul_f32_e32 v197, v25, v197                              // 00000000686C: 0B8B8B19
	v_mul_f32_e32 v198, v25, v198                              // 000000006870: 0B8D8D19
	v_mul_f32_e32 v199, v25, v199                              // 000000006874: 0B8F8F19
	v_mul_f32_dpp v196, v12, v196 row_newbcast:0 row_mask:0xf bank_mask:0xf// 000000006878: 0B8988FA FF01500C
	v_mul_f32_dpp v197, v12, v197 row_newbcast:1 row_mask:0xf bank_mask:0xf// 000000006880: 0B8B8AFA FF01510C
	v_mul_f32_dpp v198, v12, v198 row_newbcast:2 row_mask:0xf bank_mask:0xf// 000000006888: 0B8D8CFA FF01520C
	v_mul_f32_dpp v199, v12, v199 row_newbcast:3 row_mask:0xf bank_mask:0xf// 000000006890: 0B8F8EFA FF01530C
	v_mul_f32_e32 v196, v21, v196                              // 000000006898: 0B898915
	v_mul_f32_e32 v197, v21, v197                              // 00000000689C: 0B8B8B15
	v_mul_f32_e32 v198, v21, v198                              // 0000000068A0: 0B8D8D15
	v_mul_f32_e32 v199, v21, v199                              // 0000000068A4: 0B8F8F15
	v_mul_f32_e32 v200, v24, v200                              // 0000000068A8: 0B919118
	v_mul_f32_e32 v201, v24, v201                              // 0000000068AC: 0B939318
	v_mul_f32_e32 v202, v24, v202                              // 0000000068B0: 0B959518
	v_mul_f32_e32 v203, v24, v203                              // 0000000068B4: 0B979718
	v_mul_f32_dpp v200, v12, v200 row_newbcast:4 row_mask:0xf bank_mask:0xf// 0000000068B8: 0B9190FA FF01540C
	v_mul_f32_dpp v201, v12, v201 row_newbcast:5 row_mask:0xf bank_mask:0xf// 0000000068C0: 0B9392FA FF01550C
	v_mul_f32_dpp v202, v12, v202 row_newbcast:6 row_mask:0xf bank_mask:0xf// 0000000068C8: 0B9594FA FF01560C
	v_mul_f32_dpp v203, v12, v203 row_newbcast:7 row_mask:0xf bank_mask:0xf// 0000000068D0: 0B9796FA FF01570C
	v_mul_f32_e32 v200, v20, v200                              // 0000000068D8: 0B919114
	v_mul_f32_e32 v201, v20, v201                              // 0000000068DC: 0B939314
	v_mul_f32_e32 v202, v20, v202                              // 0000000068E0: 0B959514
	v_mul_f32_e32 v203, v20, v203                              // 0000000068E4: 0B979714
	v_mul_f32_e32 v204, v25, v204                              // 0000000068E8: 0B999919
	v_mul_f32_e32 v205, v25, v205                              // 0000000068EC: 0B9B9B19
	v_mul_f32_e32 v206, v25, v206                              // 0000000068F0: 0B9D9D19
	v_mul_f32_e32 v207, v25, v207                              // 0000000068F4: 0B9F9F19
	v_mul_f32_dpp v204, v12, v204 row_newbcast:4 row_mask:0xf bank_mask:0xf// 0000000068F8: 0B9998FA FF01540C
	v_mul_f32_dpp v205, v12, v205 row_newbcast:5 row_mask:0xf bank_mask:0xf// 000000006900: 0B9B9AFA FF01550C
	v_mul_f32_dpp v206, v12, v206 row_newbcast:6 row_mask:0xf bank_mask:0xf// 000000006908: 0B9D9CFA FF01560C
	v_mul_f32_dpp v207, v12, v207 row_newbcast:7 row_mask:0xf bank_mask:0xf// 000000006910: 0B9F9EFA FF01570C
	v_mul_f32_e32 v204, v21, v204                              // 000000006918: 0B999915
	v_mul_f32_e32 v205, v21, v205                              // 00000000691C: 0B9B9B15
	v_mul_f32_e32 v206, v21, v206                              // 000000006920: 0B9D9D15
	v_mul_f32_e32 v207, v21, v207                              // 000000006924: 0B9F9F15
	v_mul_f32_e32 v208, v24, v208                              // 000000006928: 0BA1A118
	v_mul_f32_e32 v209, v24, v209                              // 00000000692C: 0BA3A318
	v_mul_f32_e32 v210, v24, v210                              // 000000006930: 0BA5A518
	v_mul_f32_e32 v211, v24, v211                              // 000000006934: 0BA7A718
	v_mul_f32_dpp v208, v12, v208 row_newbcast:8 row_mask:0xf bank_mask:0xf// 000000006938: 0BA1A0FA FF01580C
	v_mul_f32_dpp v209, v12, v209 row_newbcast:9 row_mask:0xf bank_mask:0xf// 000000006940: 0BA3A2FA FF01590C
	v_mul_f32_dpp v210, v12, v210 row_newbcast:10 row_mask:0xf bank_mask:0xf// 000000006948: 0BA5A4FA FF015A0C
	v_mul_f32_dpp v211, v12, v211 row_newbcast:11 row_mask:0xf bank_mask:0xf// 000000006950: 0BA7A6FA FF015B0C
	v_mul_f32_e32 v208, v20, v208                              // 000000006958: 0BA1A114
	v_mul_f32_e32 v209, v20, v209                              // 00000000695C: 0BA3A314
	v_mul_f32_e32 v210, v20, v210                              // 000000006960: 0BA5A514
	v_mul_f32_e32 v211, v20, v211                              // 000000006964: 0BA7A714
	v_mul_f32_e32 v212, v25, v212                              // 000000006968: 0BA9A919
	v_mul_f32_e32 v213, v25, v213                              // 00000000696C: 0BABAB19
	v_mul_f32_e32 v214, v25, v214                              // 000000006970: 0BADAD19
	v_mul_f32_e32 v215, v25, v215                              // 000000006974: 0BAFAF19
	v_mul_f32_dpp v212, v12, v212 row_newbcast:8 row_mask:0xf bank_mask:0xf// 000000006978: 0BA9A8FA FF01580C
	v_mul_f32_dpp v213, v12, v213 row_newbcast:9 row_mask:0xf bank_mask:0xf// 000000006980: 0BABAAFA FF01590C
	v_mul_f32_dpp v214, v12, v214 row_newbcast:10 row_mask:0xf bank_mask:0xf// 000000006988: 0BADACFA FF015A0C
	v_mul_f32_dpp v215, v12, v215 row_newbcast:11 row_mask:0xf bank_mask:0xf// 000000006990: 0BAFAEFA FF015B0C
	v_mul_f32_e32 v212, v21, v212                              // 000000006998: 0BA9A915
	v_mul_f32_e32 v213, v21, v213                              // 00000000699C: 0BABAB15
	v_mul_f32_e32 v214, v21, v214                              // 0000000069A0: 0BADAD15
	v_mul_f32_e32 v215, v21, v215                              // 0000000069A4: 0BAFAF15
	v_mul_f32_e32 v216, v24, v216                              // 0000000069A8: 0BB1B118
	v_mul_f32_e32 v217, v24, v217                              // 0000000069AC: 0BB3B318
	v_mul_f32_e32 v218, v24, v218                              // 0000000069B0: 0BB5B518
	v_mul_f32_e32 v219, v24, v219                              // 0000000069B4: 0BB7B718
	v_mul_f32_dpp v216, v12, v216 row_newbcast:12 row_mask:0xf bank_mask:0xf// 0000000069B8: 0BB1B0FA FF015C0C
	v_mul_f32_dpp v217, v12, v217 row_newbcast:13 row_mask:0xf bank_mask:0xf// 0000000069C0: 0BB3B2FA FF015D0C
	v_mul_f32_dpp v218, v12, v218 row_newbcast:14 row_mask:0xf bank_mask:0xf// 0000000069C8: 0BB5B4FA FF015E0C
	v_mul_f32_dpp v219, v12, v219 row_newbcast:15 row_mask:0xf bank_mask:0xf// 0000000069D0: 0BB7B6FA FF015F0C
	v_mul_f32_e32 v216, v20, v216                              // 0000000069D8: 0BB1B114
	v_mul_f32_e32 v217, v20, v217                              // 0000000069DC: 0BB3B314
	v_mul_f32_e32 v218, v20, v218                              // 0000000069E0: 0BB5B514
	v_mul_f32_e32 v219, v20, v219                              // 0000000069E4: 0BB7B714
	v_mul_f32_e32 v220, v25, v220                              // 0000000069E8: 0BB9B919
	v_mul_f32_e32 v221, v25, v221                              // 0000000069EC: 0BBBBB19
	v_mul_f32_e32 v222, v25, v222                              // 0000000069F0: 0BBDBD19
	v_mul_f32_e32 v223, v25, v223                              // 0000000069F4: 0BBFBF19
	v_mul_f32_dpp v220, v12, v220 row_newbcast:12 row_mask:0xf bank_mask:0xf// 0000000069F8: 0BB9B8FA FF015C0C
	v_mul_f32_dpp v221, v12, v221 row_newbcast:13 row_mask:0xf bank_mask:0xf// 000000006A00: 0BBBBAFA FF015D0C
	v_mul_f32_dpp v222, v12, v222 row_newbcast:14 row_mask:0xf bank_mask:0xf// 000000006A08: 0BBDBCFA FF015E0C
	v_mul_f32_dpp v223, v12, v223 row_newbcast:15 row_mask:0xf bank_mask:0xf// 000000006A10: 0BBFBEFA FF015F0C
	v_mul_f32_e32 v220, v21, v220                              // 000000006A18: 0BB9B915
	v_mul_f32_e32 v221, v21, v221                              // 000000006A1C: 0BBBBB15
	v_mul_f32_e32 v222, v21, v222                              // 000000006A20: 0BBDBD15
	v_mul_f32_e32 v223, v21, v223                              // 000000006A24: 0BBFBF15
	v_cmp_u_f32_e64 s[48:49], v192, v192                       // 000000006A28: D0480030 000381C0
	v_add3_u32 v46, v192, v49, 1                               // 000000006A30: D1FF002E 020663C0
	v_cndmask_b32_e64 v52, v46, v48, s[48:49]                  // 000000006A38: D1000034 00C2612E
	v_cmp_u_f32_e64 s[48:49], v193, v193                       // 000000006A40: D0480030 000383C1
	v_add3_u32 v46, v193, v49, 1                               // 000000006A48: D1FF002E 020663C1
	v_cndmask_b32_e64 v53, v46, v48, s[48:49]                  // 000000006A50: D1000035 00C2612E
	v_perm_b32 v192, v53, v52, s52                             // 000000006A58: D1ED00C0 00D26935
	v_cmp_u_f32_e64 s[48:49], v194, v194                       // 000000006A60: D0480030 000385C2
	v_add3_u32 v46, v194, v49, 1                               // 000000006A68: D1FF002E 020663C2
	v_cndmask_b32_e64 v52, v46, v48, s[48:49]                  // 000000006A70: D1000034 00C2612E
	v_cmp_u_f32_e64 s[48:49], v195, v195                       // 000000006A78: D0480030 000387C3
	v_add3_u32 v46, v195, v49, 1                               // 000000006A80: D1FF002E 020663C3
	v_cndmask_b32_e64 v53, v46, v48, s[48:49]                  // 000000006A88: D1000035 00C2612E
	v_perm_b32 v193, v53, v52, s52                             // 000000006A90: D1ED00C1 00D26935
	v_cmp_u_f32_e64 s[48:49], v196, v196                       // 000000006A98: D0480030 000389C4
	v_add3_u32 v46, v196, v49, 1                               // 000000006AA0: D1FF002E 020663C4
	v_cndmask_b32_e64 v52, v46, v48, s[48:49]                  // 000000006AA8: D1000034 00C2612E
	v_cmp_u_f32_e64 s[48:49], v197, v197                       // 000000006AB0: D0480030 00038BC5
	v_add3_u32 v46, v197, v49, 1                               // 000000006AB8: D1FF002E 020663C5
	v_cndmask_b32_e64 v53, v46, v48, s[48:49]                  // 000000006AC0: D1000035 00C2612E
	v_perm_b32 v194, v53, v52, s52                             // 000000006AC8: D1ED00C2 00D26935
	v_cmp_u_f32_e64 s[48:49], v198, v198                       // 000000006AD0: D0480030 00038DC6
	v_add3_u32 v46, v198, v49, 1                               // 000000006AD8: D1FF002E 020663C6
	v_cndmask_b32_e64 v52, v46, v48, s[48:49]                  // 000000006AE0: D1000034 00C2612E
	v_cmp_u_f32_e64 s[48:49], v199, v199                       // 000000006AE8: D0480030 00038FC7
	v_add3_u32 v46, v199, v49, 1                               // 000000006AF0: D1FF002E 020663C7
	v_cndmask_b32_e64 v53, v46, v48, s[48:49]                  // 000000006AF8: D1000035 00C2612E
	v_perm_b32 v195, v53, v52, s52                             // 000000006B00: D1ED00C3 00D26935
	v_cmp_u_f32_e64 s[48:49], v200, v200                       // 000000006B08: D0480030 000391C8
	v_add3_u32 v46, v200, v49, 1                               // 000000006B10: D1FF002E 020663C8
	v_cndmask_b32_e64 v52, v46, v48, s[48:49]                  // 000000006B18: D1000034 00C2612E
	v_cmp_u_f32_e64 s[48:49], v201, v201                       // 000000006B20: D0480030 000393C9
	v_add3_u32 v46, v201, v49, 1                               // 000000006B28: D1FF002E 020663C9
	v_cndmask_b32_e64 v53, v46, v48, s[48:49]                  // 000000006B30: D1000035 00C2612E
	v_perm_b32 v196, v53, v52, s52                             // 000000006B38: D1ED00C4 00D26935
	v_cmp_u_f32_e64 s[48:49], v202, v202                       // 000000006B40: D0480030 000395CA
	v_add3_u32 v46, v202, v49, 1                               // 000000006B48: D1FF002E 020663CA
	v_cndmask_b32_e64 v52, v46, v48, s[48:49]                  // 000000006B50: D1000034 00C2612E
	v_cmp_u_f32_e64 s[48:49], v203, v203                       // 000000006B58: D0480030 000397CB
	v_add3_u32 v46, v203, v49, 1                               // 000000006B60: D1FF002E 020663CB
	v_cndmask_b32_e64 v53, v46, v48, s[48:49]                  // 000000006B68: D1000035 00C2612E
	v_perm_b32 v197, v53, v52, s52                             // 000000006B70: D1ED00C5 00D26935
	v_cmp_u_f32_e64 s[48:49], v204, v204                       // 000000006B78: D0480030 000399CC
	v_add3_u32 v46, v204, v49, 1                               // 000000006B80: D1FF002E 020663CC
	v_cndmask_b32_e64 v52, v46, v48, s[48:49]                  // 000000006B88: D1000034 00C2612E
	v_cmp_u_f32_e64 s[48:49], v205, v205                       // 000000006B90: D0480030 00039BCD
	v_add3_u32 v46, v205, v49, 1                               // 000000006B98: D1FF002E 020663CD
	v_cndmask_b32_e64 v53, v46, v48, s[48:49]                  // 000000006BA0: D1000035 00C2612E
	v_perm_b32 v198, v53, v52, s52                             // 000000006BA8: D1ED00C6 00D26935
	v_cmp_u_f32_e64 s[48:49], v206, v206                       // 000000006BB0: D0480030 00039DCE
	v_add3_u32 v46, v206, v49, 1                               // 000000006BB8: D1FF002E 020663CE
	v_cndmask_b32_e64 v52, v46, v48, s[48:49]                  // 000000006BC0: D1000034 00C2612E
	v_cmp_u_f32_e64 s[48:49], v207, v207                       // 000000006BC8: D0480030 00039FCF
	v_add3_u32 v46, v207, v49, 1                               // 000000006BD0: D1FF002E 020663CF
	v_cndmask_b32_e64 v53, v46, v48, s[48:49]                  // 000000006BD8: D1000035 00C2612E
	v_perm_b32 v199, v53, v52, s52                             // 000000006BE0: D1ED00C7 00D26935
	v_cmp_u_f32_e64 s[48:49], v208, v208                       // 000000006BE8: D0480030 0003A1D0
	v_add3_u32 v46, v208, v49, 1                               // 000000006BF0: D1FF002E 020663D0
	v_cndmask_b32_e64 v52, v46, v48, s[48:49]                  // 000000006BF8: D1000034 00C2612E
	v_cmp_u_f32_e64 s[48:49], v209, v209                       // 000000006C00: D0480030 0003A3D1
	v_add3_u32 v46, v209, v49, 1                               // 000000006C08: D1FF002E 020663D1
	v_cndmask_b32_e64 v53, v46, v48, s[48:49]                  // 000000006C10: D1000035 00C2612E
	v_perm_b32 v200, v53, v52, s52                             // 000000006C18: D1ED00C8 00D26935
	v_cmp_u_f32_e64 s[48:49], v210, v210                       // 000000006C20: D0480030 0003A5D2
	v_add3_u32 v46, v210, v49, 1                               // 000000006C28: D1FF002E 020663D2
	v_cndmask_b32_e64 v52, v46, v48, s[48:49]                  // 000000006C30: D1000034 00C2612E
	v_cmp_u_f32_e64 s[48:49], v211, v211                       // 000000006C38: D0480030 0003A7D3
	v_add3_u32 v46, v211, v49, 1                               // 000000006C40: D1FF002E 020663D3
	v_cndmask_b32_e64 v53, v46, v48, s[48:49]                  // 000000006C48: D1000035 00C2612E
	v_perm_b32 v201, v53, v52, s52                             // 000000006C50: D1ED00C9 00D26935
	v_cmp_u_f32_e64 s[48:49], v212, v212                       // 000000006C58: D0480030 0003A9D4
	v_add3_u32 v46, v212, v49, 1                               // 000000006C60: D1FF002E 020663D4
	v_cndmask_b32_e64 v52, v46, v48, s[48:49]                  // 000000006C68: D1000034 00C2612E
	v_cmp_u_f32_e64 s[48:49], v213, v213                       // 000000006C70: D0480030 0003ABD5
	v_add3_u32 v46, v213, v49, 1                               // 000000006C78: D1FF002E 020663D5
	v_cndmask_b32_e64 v53, v46, v48, s[48:49]                  // 000000006C80: D1000035 00C2612E
	v_perm_b32 v202, v53, v52, s52                             // 000000006C88: D1ED00CA 00D26935
	v_cmp_u_f32_e64 s[48:49], v214, v214                       // 000000006C90: D0480030 0003ADD6
	v_add3_u32 v46, v214, v49, 1                               // 000000006C98: D1FF002E 020663D6
	v_cndmask_b32_e64 v52, v46, v48, s[48:49]                  // 000000006CA0: D1000034 00C2612E
	v_cmp_u_f32_e64 s[48:49], v215, v215                       // 000000006CA8: D0480030 0003AFD7
	v_add3_u32 v46, v215, v49, 1                               // 000000006CB0: D1FF002E 020663D7
	v_cndmask_b32_e64 v53, v46, v48, s[48:49]                  // 000000006CB8: D1000035 00C2612E
	v_perm_b32 v203, v53, v52, s52                             // 000000006CC0: D1ED00CB 00D26935
	v_cmp_u_f32_e64 s[48:49], v216, v216                       // 000000006CC8: D0480030 0003B1D8
	v_add3_u32 v46, v216, v49, 1                               // 000000006CD0: D1FF002E 020663D8
	v_cndmask_b32_e64 v52, v46, v48, s[48:49]                  // 000000006CD8: D1000034 00C2612E
	v_cmp_u_f32_e64 s[48:49], v217, v217                       // 000000006CE0: D0480030 0003B3D9
	v_add3_u32 v46, v217, v49, 1                               // 000000006CE8: D1FF002E 020663D9
	v_cndmask_b32_e64 v53, v46, v48, s[48:49]                  // 000000006CF0: D1000035 00C2612E
	v_perm_b32 v204, v53, v52, s52                             // 000000006CF8: D1ED00CC 00D26935
	v_cmp_u_f32_e64 s[48:49], v218, v218                       // 000000006D00: D0480030 0003B5DA
	v_add3_u32 v46, v218, v49, 1                               // 000000006D08: D1FF002E 020663DA
	v_cndmask_b32_e64 v52, v46, v48, s[48:49]                  // 000000006D10: D1000034 00C2612E
	v_cmp_u_f32_e64 s[48:49], v219, v219                       // 000000006D18: D0480030 0003B7DB
	v_add3_u32 v46, v219, v49, 1                               // 000000006D20: D1FF002E 020663DB
	v_cndmask_b32_e64 v53, v46, v48, s[48:49]                  // 000000006D28: D1000035 00C2612E
	v_perm_b32 v205, v53, v52, s52                             // 000000006D30: D1ED00CD 00D26935
	v_cmp_u_f32_e64 s[48:49], v220, v220                       // 000000006D38: D0480030 0003B9DC
	v_add3_u32 v46, v220, v49, 1                               // 000000006D40: D1FF002E 020663DC
	v_cndmask_b32_e64 v52, v46, v48, s[48:49]                  // 000000006D48: D1000034 00C2612E
	v_cmp_u_f32_e64 s[48:49], v221, v221                       // 000000006D50: D0480030 0003BBDD
	v_add3_u32 v46, v221, v49, 1                               // 000000006D58: D1FF002E 020663DD
	v_cndmask_b32_e64 v53, v46, v48, s[48:49]                  // 000000006D60: D1000035 00C2612E
	v_perm_b32 v206, v53, v52, s52                             // 000000006D68: D1ED00CE 00D26935
	v_cmp_u_f32_e64 s[48:49], v222, v222                       // 000000006D70: D0480030 0003BDDE
	v_add3_u32 v46, v222, v49, 1                               // 000000006D78: D1FF002E 020663DE
	v_cndmask_b32_e64 v52, v46, v48, s[48:49]                  // 000000006D80: D1000034 00C2612E
	v_cmp_u_f32_e64 s[48:49], v223, v223                       // 000000006D88: D0480030 0003BFDF
	v_add3_u32 v46, v223, v49, 1                               // 000000006D90: D1FF002E 020663DF
	v_cndmask_b32_e64 v53, v46, v48, s[48:49]                  // 000000006D98: D1000035 00C2612E
	v_perm_b32 v207, v53, v52, s52                             // 000000006DA0: D1ED00CF 00D26935
	ds_write_b64 v3, v[192:193] offset:35072                   // 000000006DA8: D89A8900 0000C003
	ds_write_b64 v3, v[194:195] offset:43776                   // 000000006DB0: D89AAB00 0000C203
	ds_write_b64 v3, v[196:197] offset:37248                   // 000000006DB8: D89A9180 0000C403
	ds_write_b64 v3, v[198:199] offset:45952                   // 000000006DC0: D89AB380 0000C603
	ds_write_b64 v3, v[200:201] offset:39424                   // 000000006DC8: D89A9A00 0000C803
	ds_write_b64 v3, v[202:203] offset:48128                   // 000000006DD0: D89ABC00 0000CA03
	ds_write_b64 v3, v[204:205] offset:41600                   // 000000006DD8: D89AA280 0000CC03
	ds_write_b64 v3, v[206:207] offset:50304                   // 000000006DE0: D89AC480 0000CE03
	s_waitcnt lgkmcnt(0)                                       // 000000006DE8: BF8CC07F
	s_barrier                                                  // 000000006DEC: BF8A0000
	ds_read_b32 v64, v4 offset:35072                           // 000000006DF0: D86C8900 40000004
	ds_read_b32 v65, v4 offset:39424                           // 000000006DF8: D86C9A00 41000004
	ds_read_b32 v66, v4 offset:35104                           // 000000006E00: D86C8920 42000004
	ds_read_b32 v67, v4 offset:39456                           // 000000006E08: D86C9A20 43000004
	ds_read_b32 v68, v4 offset:35136                           // 000000006E10: D86C8940 44000004
	ds_read_b32 v69, v4 offset:39488                           // 000000006E18: D86C9A40 45000004
	ds_read_b32 v70, v4 offset:35168                           // 000000006E20: D86C8960 46000004
	ds_read_b32 v71, v4 offset:39520                           // 000000006E28: D86C9A60 47000004
	ds_read_b32 v72, v4 offset:43776                           // 000000006E30: D86CAB00 48000004
	ds_read_b32 v73, v4 offset:48128                           // 000000006E38: D86CBC00 49000004
	ds_read_b32 v74, v4 offset:43808                           // 000000006E40: D86CAB20 4A000004
	ds_read_b32 v75, v4 offset:48160                           // 000000006E48: D86CBC20 4B000004
	ds_read_b32 v76, v4 offset:43840                           // 000000006E50: D86CAB40 4C000004
	ds_read_b32 v77, v4 offset:48192                           // 000000006E58: D86CBC40 4D000004
	ds_read_b32 v78, v4 offset:43872                           // 000000006E60: D86CAB60 4E000004
	ds_read_b32 v79, v4 offset:48224                           // 000000006E68: D86CBC60 4F000004
	s_waitcnt lgkmcnt(0)                                       // 000000006E70: BF8CC07F
	s_mov_b64 exec, s[20:21]                                   // 000000006E74: BEFE0114
	global_atomic_pk_add_bf16 v80, v64, s[8:9]                 // 000000006E78: DD488000 00084050
	s_mov_b64 exec, s[36:37]                                   // 000000006E80: BEFE0124
	s_mov_b64 exec, s[20:21]                                   // 000000006E84: BEFE0114
	global_atomic_pk_add_bf16 v80, v65, s[8:9] offset:256      // 000000006E88: DD488100 00084150
	s_mov_b64 exec, s[36:37]                                   // 000000006E90: BEFE0124
	s_mov_b64 exec, s[22:23]                                   // 000000006E94: BEFE0116
	global_atomic_pk_add_bf16 v82, v66, s[8:9]                 // 000000006E98: DD488000 00084252
	s_mov_b64 exec, s[36:37]                                   // 000000006EA0: BEFE0124
	s_mov_b64 exec, s[22:23]                                   // 000000006EA4: BEFE0116
	global_atomic_pk_add_bf16 v82, v67, s[8:9] offset:256      // 000000006EA8: DD488100 00084352
	s_mov_b64 exec, s[36:37]                                   // 000000006EB0: BEFE0124
	s_mov_b64 exec, s[24:25]                                   // 000000006EB4: BEFE0118
	global_atomic_pk_add_bf16 v84, v68, s[8:9]                 // 000000006EB8: DD488000 00084454
	s_mov_b64 exec, s[36:37]                                   // 000000006EC0: BEFE0124
	s_mov_b64 exec, s[24:25]                                   // 000000006EC4: BEFE0118
	global_atomic_pk_add_bf16 v84, v69, s[8:9] offset:256      // 000000006EC8: DD488100 00084554
	s_mov_b64 exec, s[36:37]                                   // 000000006ED0: BEFE0124
	s_mov_b64 exec, s[26:27]                                   // 000000006ED4: BEFE011A
	global_atomic_pk_add_bf16 v86, v70, s[8:9]                 // 000000006ED8: DD488000 00084656
	s_mov_b64 exec, s[36:37]                                   // 000000006EE0: BEFE0124
	s_mov_b64 exec, s[26:27]                                   // 000000006EE4: BEFE011A
	global_atomic_pk_add_bf16 v86, v71, s[8:9] offset:256      // 000000006EE8: DD488100 00084756
	s_mov_b64 exec, s[36:37]                                   // 000000006EF0: BEFE0124
	s_mov_b64 exec, s[28:29]                                   // 000000006EF4: BEFE011C
	global_atomic_pk_add_bf16 v88, v72, s[8:9]                 // 000000006EF8: DD488000 00084858
	s_mov_b64 exec, s[36:37]                                   // 000000006F00: BEFE0124
	s_mov_b64 exec, s[28:29]                                   // 000000006F04: BEFE011C
	global_atomic_pk_add_bf16 v88, v73, s[8:9] offset:256      // 000000006F08: DD488100 00084958
	s_mov_b64 exec, s[36:37]                                   // 000000006F10: BEFE0124
	s_mov_b64 exec, s[30:31]                                   // 000000006F14: BEFE011E
	global_atomic_pk_add_bf16 v90, v74, s[8:9]                 // 000000006F18: DD488000 00084A5A
	s_mov_b64 exec, s[36:37]                                   // 000000006F20: BEFE0124
	s_mov_b64 exec, s[30:31]                                   // 000000006F24: BEFE011E
	global_atomic_pk_add_bf16 v90, v75, s[8:9] offset:256      // 000000006F28: DD488100 00084B5A
	s_mov_b64 exec, s[36:37]                                   // 000000006F30: BEFE0124
	s_mov_b64 exec, s[32:33]                                   // 000000006F34: BEFE0120
	global_atomic_pk_add_bf16 v92, v76, s[8:9]                 // 000000006F38: DD488000 00084C5C
	s_mov_b64 exec, s[36:37]                                   // 000000006F40: BEFE0124
	s_mov_b64 exec, s[32:33]                                   // 000000006F44: BEFE0120
	global_atomic_pk_add_bf16 v92, v77, s[8:9] offset:256      // 000000006F48: DD488100 00084D5C
	s_mov_b64 exec, s[36:37]                                   // 000000006F50: BEFE0124
	s_mov_b64 exec, s[34:35]                                   // 000000006F54: BEFE0122
	global_atomic_pk_add_bf16 v94, v78, s[8:9]                 // 000000006F58: DD488000 00084E5E
	s_mov_b64 exec, s[36:37]                                   // 000000006F60: BEFE0124
	s_mov_b64 exec, s[34:35]                                   // 000000006F64: BEFE0122
	global_atomic_pk_add_bf16 v94, v79, s[8:9] offset:256      // 000000006F68: DD488100 00084F5E
	s_mov_b64 exec, s[36:37]                                   // 000000006F70: BEFE0124
	s_add_u32 s8, s59, s8                                      // 000000006F74: 8008083B
	s_addc_u32 s9, 0, s9                                       // 000000006F78: 82090980
	s_addk_i32 s80, 0x100                                      // 000000006F7C: B7500100
	s_cmp_lt_i32 s80, s81                                      // 000000006F80: BF045150
	s_cbranch_scc0 label_145E                                  // 000000006F84: BF84033C
	s_waitcnt vmcnt(45)                                        // 000000006F88: BF8C8F7D
	s_barrier                                                  // 000000006F8C: BF8A0000
	v_mfma_f32_16x16x32_fp8_fp8 v[224:227], a[128:129], v[128:129], 0// 000000006F90: D3F300E0 0A030180
	v_mfma_f32_16x16x32_fp8_fp8 v[224:227], a[130:131], v[130:131], v[224:227]// 000000006F98: D3F300E0 0F830582
	buffer_load_dwordx4 a[0:3], v42, s[12:15], 0 offen         // 000000006FA0: E05C1000 8083002A
	v_mfma_f32_16x16x32_fp8_fp8 v[228:231], a[128:129], v[160:161], 0// 000000006FA8: D3F300E4 0A034180
	v_mfma_f32_16x16x32_fp8_fp8 v[228:231], a[130:131], v[162:163], v[228:231]// 000000006FB0: D3F300E4 0F934582
	v_mfma_f32_16x16x32_fp8_fp8 v[232:235], a[132:133], v[128:129], 0// 000000006FB8: D3F300E8 0A030184
	v_mfma_f32_16x16x32_fp8_fp8 v[232:235], a[134:135], v[130:131], v[232:235]// 000000006FC0: D3F300E8 0FA30586
	buffer_load_dwordx4 a[4:7], v43, s[12:15], 0 offen         // 000000006FC8: E05C1000 8083042B
	v_mfma_f32_16x16x32_fp8_fp8 v[236:239], a[132:133], v[160:161], 0// 000000006FD0: D3F300EC 0A034184
	v_mfma_f32_16x16x32_fp8_fp8 v[236:239], a[134:135], v[162:163], v[236:239]// 000000006FD8: D3F300EC 0FB34586
	v_mfma_f32_16x16x32_fp8_fp8 v[240:243], a[136:137], v[128:129], 0// 000000006FE0: D3F300F0 0A030188
	v_mfma_f32_16x16x32_fp8_fp8 v[240:243], a[138:139], v[130:131], v[240:243]// 000000006FE8: D3F300F0 0FC3058A
	buffer_load_dwordx4 a[8:11], v44, s[12:15], 0 offen        // 000000006FF0: E05C1000 8083082C
	v_mfma_f32_16x16x32_fp8_fp8 v[244:247], a[136:137], v[160:161], 0// 000000006FF8: D3F300F4 0A034188
	v_mfma_f32_16x16x32_fp8_fp8 v[244:247], a[138:139], v[162:163], v[244:247]// 000000007000: D3F300F4 0FD3458A
	v_mfma_f32_16x16x32_fp8_fp8 v[248:251], a[140:141], v[128:129], 0// 000000007008: D3F300F8 0A03018C
	v_mfma_f32_16x16x32_fp8_fp8 v[248:251], a[142:143], v[130:131], v[248:251]// 000000007010: D3F300F8 0FE3058E
	buffer_load_dwordx4 a[12:15], v45, s[12:15], 0 offen       // 000000007018: E05C1000 80830C2D
	s_add_u32 s12, s78, s12                                    // 000000007020: 800C0C4E
	s_addc_u32 s13, 0, s13                                     // 000000007024: 820D0D80
	v_mfma_f32_16x16x32_fp8_fp8 v[252:255], a[140:141], v[160:161], 0// 000000007028: D3F300FC 0A03418C
	v_mfma_f32_16x16x32_fp8_fp8 v[252:255], a[142:143], v[162:163], v[252:255]// 000000007030: D3F300FC 0FF3458E
	s_waitcnt vmcnt(45)                                        // 000000007038: BF8C8F7D
	v_mfma_f32_16x16x32_fp8_fp8 v[224:227], a[144:145], v[132:133], v[224:227]// 00000000703C: D3F300E0 0F830990
	v_mfma_f32_16x16x32_fp8_fp8 v[224:227], a[146:147], v[134:135], v[224:227]// 000000007044: D3F300E0 0F830D92
	buffer_load_dwordx4 a[16:19], v42, s[12:15], 0 offen       // 00000000704C: E05C1000 8083102A
	v_mfma_f32_16x16x32_fp8_fp8 v[228:231], a[144:145], v[164:165], v[228:231]// 000000007054: D3F300E4 0F934990
	v_mfma_f32_16x16x32_fp8_fp8 v[228:231], a[146:147], v[166:167], v[228:231]// 00000000705C: D3F300E4 0F934D92
	v_mfma_f32_16x16x32_fp8_fp8 v[232:235], a[148:149], v[132:133], v[232:235]// 000000007064: D3F300E8 0FA30994
	v_mfma_f32_16x16x32_fp8_fp8 v[232:235], a[150:151], v[134:135], v[232:235]// 00000000706C: D3F300E8 0FA30D96
	buffer_load_dwordx4 a[20:23], v43, s[12:15], 0 offen       // 000000007074: E05C1000 8083142B
	v_mfma_f32_16x16x32_fp8_fp8 v[236:239], a[148:149], v[164:165], v[236:239]// 00000000707C: D3F300EC 0FB34994
	v_mfma_f32_16x16x32_fp8_fp8 v[236:239], a[150:151], v[166:167], v[236:239]// 000000007084: D3F300EC 0FB34D96
	v_mfma_f32_16x16x32_fp8_fp8 v[240:243], a[152:153], v[132:133], v[240:243]// 00000000708C: D3F300F0 0FC30998
	v_mfma_f32_16x16x32_fp8_fp8 v[240:243], a[154:155], v[134:135], v[240:243]// 000000007094: D3F300F0 0FC30D9A
	buffer_load_dwordx4 a[24:27], v44, s[12:15], 0 offen       // 00000000709C: E05C1000 8083182C
	v_mfma_f32_16x16x32_fp8_fp8 v[244:247], a[152:153], v[164:165], v[244:247]// 0000000070A4: D3F300F4 0FD34998
	v_mfma_f32_16x16x32_fp8_fp8 v[244:247], a[154:155], v[166:167], v[244:247]// 0000000070AC: D3F300F4 0FD34D9A
	v_mfma_f32_16x16x32_fp8_fp8 v[248:251], a[156:157], v[132:133], v[248:251]// 0000000070B4: D3F300F8 0FE3099C
	v_mfma_f32_16x16x32_fp8_fp8 v[248:251], a[158:159], v[134:135], v[248:251]// 0000000070BC: D3F300F8 0FE30D9E
	buffer_load_dwordx4 a[28:31], v45, s[12:15], 0 offen       // 0000000070C4: E05C1000 80831C2D
	s_add_u32 s12, s78, s12                                    // 0000000070CC: 800C0C4E
	s_addc_u32 s13, 0, s13                                     // 0000000070D0: 820D0D80
	v_mfma_f32_16x16x32_fp8_fp8 v[252:255], a[156:157], v[164:165], v[252:255]// 0000000070D4: D3F300FC 0FF3499C
	v_mfma_f32_16x16x32_fp8_fp8 v[252:255], a[158:159], v[166:167], v[252:255]// 0000000070DC: D3F300FC 0FF34D9E
	s_waitcnt vmcnt(45)                                        // 0000000070E4: BF8C8F7D
	v_mfma_f32_16x16x32_fp8_fp8 v[224:227], a[160:161], v[136:137], v[224:227]// 0000000070E8: D3F300E0 0F8311A0
	v_mfma_f32_16x16x32_fp8_fp8 v[224:227], a[162:163], v[138:139], v[224:227]// 0000000070F0: D3F300E0 0F8315A2
	buffer_load_dwordx4 a[32:35], v42, s[12:15], 0 offen       // 0000000070F8: E05C1000 8083202A
	v_mfma_f32_16x16x32_fp8_fp8 v[228:231], a[160:161], v[168:169], v[228:231]// 000000007100: D3F300E4 0F9351A0
	v_mfma_f32_16x16x32_fp8_fp8 v[228:231], a[162:163], v[170:171], v[228:231]// 000000007108: D3F300E4 0F9355A2
	v_mfma_f32_16x16x32_fp8_fp8 v[232:235], a[164:165], v[136:137], v[232:235]// 000000007110: D3F300E8 0FA311A4
	v_mfma_f32_16x16x32_fp8_fp8 v[232:235], a[166:167], v[138:139], v[232:235]// 000000007118: D3F300E8 0FA315A6
	buffer_load_dwordx4 a[36:39], v43, s[12:15], 0 offen       // 000000007120: E05C1000 8083242B
	v_mfma_f32_16x16x32_fp8_fp8 v[236:239], a[164:165], v[168:169], v[236:239]// 000000007128: D3F300EC 0FB351A4
	v_mfma_f32_16x16x32_fp8_fp8 v[236:239], a[166:167], v[170:171], v[236:239]// 000000007130: D3F300EC 0FB355A6
	v_mfma_f32_16x16x32_fp8_fp8 v[240:243], a[168:169], v[136:137], v[240:243]// 000000007138: D3F300F0 0FC311A8
	v_mfma_f32_16x16x32_fp8_fp8 v[240:243], a[170:171], v[138:139], v[240:243]// 000000007140: D3F300F0 0FC315AA
	buffer_load_dwordx4 a[40:43], v44, s[12:15], 0 offen       // 000000007148: E05C1000 8083282C
	v_mfma_f32_16x16x32_fp8_fp8 v[244:247], a[168:169], v[168:169], v[244:247]// 000000007150: D3F300F4 0FD351A8
	v_mfma_f32_16x16x32_fp8_fp8 v[244:247], a[170:171], v[170:171], v[244:247]// 000000007158: D3F300F4 0FD355AA
	v_mfma_f32_16x16x32_fp8_fp8 v[248:251], a[172:173], v[136:137], v[248:251]// 000000007160: D3F300F8 0FE311AC
	v_mfma_f32_16x16x32_fp8_fp8 v[248:251], a[174:175], v[138:139], v[248:251]// 000000007168: D3F300F8 0FE315AE
	buffer_load_dwordx4 a[44:47], v45, s[12:15], 0 offen       // 000000007170: E05C1000 80832C2D
	s_add_u32 s12, s78, s12                                    // 000000007178: 800C0C4E
	s_addc_u32 s13, 0, s13                                     // 00000000717C: 820D0D80
	v_mfma_f32_16x16x32_fp8_fp8 v[252:255], a[172:173], v[168:169], v[252:255]// 000000007180: D3F300FC 0FF351AC
	v_mfma_f32_16x16x32_fp8_fp8 v[252:255], a[174:175], v[170:171], v[252:255]// 000000007188: D3F300FC 0FF355AE
	s_waitcnt vmcnt(45)                                        // 000000007190: BF8C8F7D
	v_mfma_f32_16x16x32_fp8_fp8 v[224:227], a[176:177], v[140:141], v[224:227]// 000000007194: D3F300E0 0F8319B0
	v_mfma_f32_16x16x32_fp8_fp8 v[224:227], a[178:179], v[142:143], v[224:227]// 00000000719C: D3F300E0 0F831DB2
	buffer_load_dwordx4 a[48:51], v42, s[12:15], 0 offen       // 0000000071A4: E05C1000 8083302A
	v_mfma_f32_16x16x32_fp8_fp8 v[228:231], a[176:177], v[172:173], v[228:231]// 0000000071AC: D3F300E4 0F9359B0
	v_mfma_f32_16x16x32_fp8_fp8 v[228:231], a[178:179], v[174:175], v[228:231]// 0000000071B4: D3F300E4 0F935DB2
	v_mfma_f32_16x16x32_fp8_fp8 v[232:235], a[180:181], v[140:141], v[232:235]// 0000000071BC: D3F300E8 0FA319B4
	v_mfma_f32_16x16x32_fp8_fp8 v[232:235], a[182:183], v[142:143], v[232:235]// 0000000071C4: D3F300E8 0FA31DB6
	buffer_load_dwordx4 a[52:55], v43, s[12:15], 0 offen       // 0000000071CC: E05C1000 8083342B
	v_mfma_f32_16x16x32_fp8_fp8 v[236:239], a[180:181], v[172:173], v[236:239]// 0000000071D4: D3F300EC 0FB359B4
	v_mfma_f32_16x16x32_fp8_fp8 v[236:239], a[182:183], v[174:175], v[236:239]// 0000000071DC: D3F300EC 0FB35DB6
	v_mfma_f32_16x16x32_fp8_fp8 v[240:243], a[184:185], v[140:141], v[240:243]// 0000000071E4: D3F300F0 0FC319B8
	v_mfma_f32_16x16x32_fp8_fp8 v[240:243], a[186:187], v[142:143], v[240:243]// 0000000071EC: D3F300F0 0FC31DBA
	buffer_load_dwordx4 a[56:59], v44, s[12:15], 0 offen       // 0000000071F4: E05C1000 8083382C
	v_mfma_f32_16x16x32_fp8_fp8 v[244:247], a[184:185], v[172:173], v[244:247]// 0000000071FC: D3F300F4 0FD359B8
	v_mfma_f32_16x16x32_fp8_fp8 v[244:247], a[186:187], v[174:175], v[244:247]// 000000007204: D3F300F4 0FD35DBA
	v_mfma_f32_16x16x32_fp8_fp8 v[248:251], a[188:189], v[140:141], v[248:251]// 00000000720C: D3F300F8 0FE319BC
	v_mfma_f32_16x16x32_fp8_fp8 v[248:251], a[190:191], v[142:143], v[248:251]// 000000007214: D3F300F8 0FE31DBE
	buffer_load_dwordx4 a[60:63], v45, s[12:15], 0 offen       // 00000000721C: E05C1000 80833C2D
	s_add_u32 s12, s78, s12                                    // 000000007224: 800C0C4E
	s_addc_u32 s13, 0, s13                                     // 000000007228: 820D0D80
	v_mfma_f32_16x16x32_fp8_fp8 v[252:255], a[188:189], v[172:173], v[252:255]// 00000000722C: D3F300FC 0FF359BC
	v_mfma_f32_16x16x32_fp8_fp8 v[252:255], a[190:191], v[174:175], v[252:255]// 000000007234: D3F300FC 0FF35DBE
	s_waitcnt vmcnt(45)                                        // 00000000723C: BF8C8F7D
	v_mfma_f32_16x16x32_fp8_fp8 v[224:227], a[192:193], v[144:145], v[224:227]// 000000007240: D3F300E0 0F8321C0
	v_mfma_f32_16x16x32_fp8_fp8 v[224:227], a[194:195], v[146:147], v[224:227]// 000000007248: D3F300E0 0F8325C2
	buffer_load_dwordx4 a[64:67], v42, s[12:15], 0 offen       // 000000007250: E05C1000 8083402A
	v_mfma_f32_16x16x32_fp8_fp8 v[228:231], a[192:193], v[176:177], v[228:231]// 000000007258: D3F300E4 0F9361C0
	v_mfma_f32_16x16x32_fp8_fp8 v[228:231], a[194:195], v[178:179], v[228:231]// 000000007260: D3F300E4 0F9365C2
	v_mfma_f32_16x16x32_fp8_fp8 v[232:235], a[196:197], v[144:145], v[232:235]// 000000007268: D3F300E8 0FA321C4
	v_mfma_f32_16x16x32_fp8_fp8 v[232:235], a[198:199], v[146:147], v[232:235]// 000000007270: D3F300E8 0FA325C6
	buffer_load_dwordx4 a[68:71], v43, s[12:15], 0 offen       // 000000007278: E05C1000 8083442B
	v_mfma_f32_16x16x32_fp8_fp8 v[236:239], a[196:197], v[176:177], v[236:239]// 000000007280: D3F300EC 0FB361C4
	v_mfma_f32_16x16x32_fp8_fp8 v[236:239], a[198:199], v[178:179], v[236:239]// 000000007288: D3F300EC 0FB365C6
	v_mfma_f32_16x16x32_fp8_fp8 v[240:243], a[200:201], v[144:145], v[240:243]// 000000007290: D3F300F0 0FC321C8
	v_mfma_f32_16x16x32_fp8_fp8 v[240:243], a[202:203], v[146:147], v[240:243]// 000000007298: D3F300F0 0FC325CA
	buffer_load_dwordx4 a[72:75], v44, s[12:15], 0 offen       // 0000000072A0: E05C1000 8083482C
	v_mfma_f32_16x16x32_fp8_fp8 v[244:247], a[200:201], v[176:177], v[244:247]// 0000000072A8: D3F300F4 0FD361C8
	v_mfma_f32_16x16x32_fp8_fp8 v[244:247], a[202:203], v[178:179], v[244:247]// 0000000072B0: D3F300F4 0FD365CA
	v_mfma_f32_16x16x32_fp8_fp8 v[248:251], a[204:205], v[144:145], v[248:251]// 0000000072B8: D3F300F8 0FE321CC
	v_mfma_f32_16x16x32_fp8_fp8 v[248:251], a[206:207], v[146:147], v[248:251]// 0000000072C0: D3F300F8 0FE325CE
	buffer_load_dwordx4 a[76:79], v45, s[12:15], 0 offen       // 0000000072C8: E05C1000 80834C2D
	s_add_u32 s12, s78, s12                                    // 0000000072D0: 800C0C4E
	s_addc_u32 s13, 0, s13                                     // 0000000072D4: 820D0D80
	v_mfma_f32_16x16x32_fp8_fp8 v[252:255], a[204:205], v[176:177], v[252:255]// 0000000072D8: D3F300FC 0FF361CC
	v_mfma_f32_16x16x32_fp8_fp8 v[252:255], a[206:207], v[178:179], v[252:255]// 0000000072E0: D3F300FC 0FF365CE
	s_waitcnt vmcnt(45)                                        // 0000000072E8: BF8C8F7D
	v_mfma_f32_16x16x32_fp8_fp8 v[224:227], a[208:209], v[148:149], v[224:227]// 0000000072EC: D3F300E0 0F8329D0
	v_mfma_f32_16x16x32_fp8_fp8 v[224:227], a[210:211], v[150:151], v[224:227]// 0000000072F4: D3F300E0 0F832DD2
	buffer_load_dwordx4 a[80:83], v42, s[12:15], 0 offen       // 0000000072FC: E05C1000 8083502A
	v_mfma_f32_16x16x32_fp8_fp8 v[228:231], a[208:209], v[180:181], v[228:231]// 000000007304: D3F300E4 0F9369D0
	v_mfma_f32_16x16x32_fp8_fp8 v[228:231], a[210:211], v[182:183], v[228:231]// 00000000730C: D3F300E4 0F936DD2
	v_mfma_f32_16x16x32_fp8_fp8 v[232:235], a[212:213], v[148:149], v[232:235]// 000000007314: D3F300E8 0FA329D4
	v_mfma_f32_16x16x32_fp8_fp8 v[232:235], a[214:215], v[150:151], v[232:235]// 00000000731C: D3F300E8 0FA32DD6
	buffer_load_dwordx4 a[84:87], v43, s[12:15], 0 offen       // 000000007324: E05C1000 8083542B
	v_mfma_f32_16x16x32_fp8_fp8 v[236:239], a[212:213], v[180:181], v[236:239]// 00000000732C: D3F300EC 0FB369D4
	v_mfma_f32_16x16x32_fp8_fp8 v[236:239], a[214:215], v[182:183], v[236:239]// 000000007334: D3F300EC 0FB36DD6
	v_mfma_f32_16x16x32_fp8_fp8 v[240:243], a[216:217], v[148:149], v[240:243]// 00000000733C: D3F300F0 0FC329D8
	v_mfma_f32_16x16x32_fp8_fp8 v[240:243], a[218:219], v[150:151], v[240:243]// 000000007344: D3F300F0 0FC32DDA
	buffer_load_dwordx4 a[88:91], v44, s[12:15], 0 offen       // 00000000734C: E05C1000 8083582C
	v_mfma_f32_16x16x32_fp8_fp8 v[244:247], a[216:217], v[180:181], v[244:247]// 000000007354: D3F300F4 0FD369D8
	v_mfma_f32_16x16x32_fp8_fp8 v[244:247], a[218:219], v[182:183], v[244:247]// 00000000735C: D3F300F4 0FD36DDA
	v_mfma_f32_16x16x32_fp8_fp8 v[248:251], a[220:221], v[148:149], v[248:251]// 000000007364: D3F300F8 0FE329DC
	v_mfma_f32_16x16x32_fp8_fp8 v[248:251], a[222:223], v[150:151], v[248:251]// 00000000736C: D3F300F8 0FE32DDE
	buffer_load_dwordx4 a[92:95], v45, s[12:15], 0 offen       // 000000007374: E05C1000 80835C2D
	s_add_u32 s12, s78, s12                                    // 00000000737C: 800C0C4E
	s_addc_u32 s13, 0, s13                                     // 000000007380: 820D0D80
	v_mfma_f32_16x16x32_fp8_fp8 v[252:255], a[220:221], v[180:181], v[252:255]// 000000007384: D3F300FC 0FF369DC
	v_mfma_f32_16x16x32_fp8_fp8 v[252:255], a[222:223], v[182:183], v[252:255]// 00000000738C: D3F300FC 0FF36DDE
	s_waitcnt vmcnt(45)                                        // 000000007394: BF8C8F7D
	v_mfma_f32_16x16x32_fp8_fp8 v[224:227], a[224:225], v[152:153], v[224:227]// 000000007398: D3F300E0 0F8331E0
	v_mfma_f32_16x16x32_fp8_fp8 v[224:227], a[226:227], v[154:155], v[224:227]// 0000000073A0: D3F300E0 0F8335E2
	buffer_load_dwordx4 a[96:99], v42, s[12:15], 0 offen       // 0000000073A8: E05C1000 8083602A
	v_mfma_f32_16x16x32_fp8_fp8 v[228:231], a[224:225], v[184:185], v[228:231]// 0000000073B0: D3F300E4 0F9371E0
	v_mfma_f32_16x16x32_fp8_fp8 v[228:231], a[226:227], v[186:187], v[228:231]// 0000000073B8: D3F300E4 0F9375E2
	v_mfma_f32_16x16x32_fp8_fp8 v[232:235], a[228:229], v[152:153], v[232:235]// 0000000073C0: D3F300E8 0FA331E4
	v_mfma_f32_16x16x32_fp8_fp8 v[232:235], a[230:231], v[154:155], v[232:235]// 0000000073C8: D3F300E8 0FA335E6
	buffer_load_dwordx4 a[100:103], v43, s[12:15], 0 offen     // 0000000073D0: E05C1000 8083642B
	v_mfma_f32_16x16x32_fp8_fp8 v[236:239], a[228:229], v[184:185], v[236:239]// 0000000073D8: D3F300EC 0FB371E4
	v_mfma_f32_16x16x32_fp8_fp8 v[236:239], a[230:231], v[186:187], v[236:239]// 0000000073E0: D3F300EC 0FB375E6
	v_mfma_f32_16x16x32_fp8_fp8 v[240:243], a[232:233], v[152:153], v[240:243]// 0000000073E8: D3F300F0 0FC331E8
	v_mfma_f32_16x16x32_fp8_fp8 v[240:243], a[234:235], v[154:155], v[240:243]// 0000000073F0: D3F300F0 0FC335EA
	buffer_load_dwordx4 a[104:107], v44, s[12:15], 0 offen     // 0000000073F8: E05C1000 8083682C
	v_mfma_f32_16x16x32_fp8_fp8 v[244:247], a[232:233], v[184:185], v[244:247]// 000000007400: D3F300F4 0FD371E8
	v_mfma_f32_16x16x32_fp8_fp8 v[244:247], a[234:235], v[186:187], v[244:247]// 000000007408: D3F300F4 0FD375EA
	v_mfma_f32_16x16x32_fp8_fp8 v[248:251], a[236:237], v[152:153], v[248:251]// 000000007410: D3F300F8 0FE331EC
	v_mfma_f32_16x16x32_fp8_fp8 v[248:251], a[238:239], v[154:155], v[248:251]// 000000007418: D3F300F8 0FE335EE
	buffer_load_dwordx4 a[108:111], v45, s[12:15], 0 offen     // 000000007420: E05C1000 80836C2D
	s_add_u32 s12, s78, s12                                    // 000000007428: 800C0C4E
	s_addc_u32 s13, 0, s13                                     // 00000000742C: 820D0D80
	v_mfma_f32_16x16x32_fp8_fp8 v[252:255], a[236:237], v[184:185], v[252:255]// 000000007430: D3F300FC 0FF371EC
	v_mfma_f32_16x16x32_fp8_fp8 v[252:255], a[238:239], v[186:187], v[252:255]// 000000007438: D3F300FC 0FF375EE
	s_waitcnt vmcnt(44)                                        // 000000007440: BF8C8F7C
	v_mfma_f32_16x16x32_fp8_fp8 v[224:227], a[240:241], v[156:157], v[224:227]// 000000007444: D3F300E0 0F8339F0
	v_mfma_f32_16x16x32_fp8_fp8 v[224:227], a[242:243], v[158:159], v[224:227]// 00000000744C: D3F300E0 0F833DF2
	buffer_load_dwordx4 a[112:115], v42, s[12:15], 0 offen     // 000000007454: E05C1000 8083702A
	v_mfma_f32_16x16x32_fp8_fp8 v[228:231], a[240:241], v[188:189], v[228:231]// 00000000745C: D3F300E4 0F9379F0
	v_mfma_f32_16x16x32_fp8_fp8 v[228:231], a[242:243], v[190:191], v[228:231]// 000000007464: D3F300E4 0F937DF2
	buffer_load_dword v12, v5, s[16:19], 0 offen               // 00000000746C: E0501000 80040C05
	v_mfma_f32_16x16x32_fp8_fp8 v[232:235], a[244:245], v[156:157], v[232:235]// 000000007474: D3F300E8 0FA339F4
	v_mfma_f32_16x16x32_fp8_fp8 v[232:235], a[246:247], v[158:159], v[232:235]// 00000000747C: D3F300E8 0FA33DF6
	buffer_load_dwordx4 a[116:119], v43, s[12:15], 0 offen     // 000000007484: E05C1000 8083742B
	v_mfma_f32_16x16x32_fp8_fp8 v[236:239], a[244:245], v[188:189], v[236:239]// 00000000748C: D3F300EC 0FB379F4
	v_mfma_f32_16x16x32_fp8_fp8 v[236:239], a[246:247], v[190:191], v[236:239]// 000000007494: D3F300EC 0FB37DF6
	v_mfma_f32_16x16x32_fp8_fp8 v[240:243], a[248:249], v[156:157], v[240:243]// 00000000749C: D3F300F0 0FC339F8
	v_mfma_f32_16x16x32_fp8_fp8 v[240:243], a[250:251], v[158:159], v[240:243]// 0000000074A4: D3F300F0 0FC33DFA
	buffer_load_dwordx4 a[120:123], v44, s[12:15], 0 offen     // 0000000074AC: E05C1000 8083782C
	v_mfma_f32_16x16x32_fp8_fp8 v[244:247], a[248:249], v[188:189], v[244:247]// 0000000074B4: D3F300F4 0FD379F8
	v_mfma_f32_16x16x32_fp8_fp8 v[244:247], a[250:251], v[190:191], v[244:247]// 0000000074BC: D3F300F4 0FD37DFA
	v_mfma_f32_16x16x32_fp8_fp8 v[248:251], a[252:253], v[156:157], v[248:251]// 0000000074C4: D3F300F8 0FE339FC
	v_mfma_f32_16x16x32_fp8_fp8 v[248:251], a[254:255], v[158:159], v[248:251]// 0000000074CC: D3F300F8 0FE33DFE
	buffer_load_dwordx4 a[124:127], v45, s[12:15], 0 offen     // 0000000074D4: E05C1000 80837C2D
	v_mfma_f32_16x16x32_fp8_fp8 v[252:255], a[252:253], v[188:189], v[252:255]// 0000000074DC: D3F300FC 0FF379FC
	v_mfma_f32_16x16x32_fp8_fp8 v[252:255], a[254:255], v[190:191], v[252:255]// 0000000074E4: D3F300FC 0FF37DFE
	s_add_u32 s60, 0x200, s80                                  // 0000000074EC: 803C50FF 00000200
	s_cmp_lt_u32 s60, s81                                      // 0000000074F4: BF0A513C
	s_cselect_b32 s56, s56, 0                                  // 0000000074F8: 85388038
	s_cselect_b32 s78, s78, 0                                  // 0000000074FC: 854E804E
	s_cselect_b32 s79, s79, 0                                  // 000000007500: 854F804F
	s_add_u32 s12, s56, s12                                    // 000000007504: 800C0C38
	s_addc_u32 s13, 0, s13                                     // 000000007508: 820D0D80
	s_add_u32 s16, s79, s16                                    // 00000000750C: 8010104F
	s_addc_u32 s17, 0, s17                                     // 000000007510: 82111180
	v_mul_f32_e32 v224, v24, v224                              // 000000007514: 0BC1C118
	v_mul_f32_e32 v225, v24, v225                              // 000000007518: 0BC3C318
	v_mul_f32_e32 v226, v24, v226                              // 00000000751C: 0BC5C518
	v_mul_f32_e32 v227, v24, v227                              // 000000007520: 0BC7C718
	v_mul_f32_dpp v224, v13, v224 row_newbcast:0 row_mask:0xf bank_mask:0xf// 000000007524: 0BC1C0FA FF01500D
	v_mul_f32_dpp v225, v13, v225 row_newbcast:1 row_mask:0xf bank_mask:0xf// 00000000752C: 0BC3C2FA FF01510D
	v_mul_f32_dpp v226, v13, v226 row_newbcast:2 row_mask:0xf bank_mask:0xf// 000000007534: 0BC5C4FA FF01520D
	v_mul_f32_dpp v227, v13, v227 row_newbcast:3 row_mask:0xf bank_mask:0xf// 00000000753C: 0BC7C6FA FF01530D
	v_mul_f32_e32 v224, v20, v224                              // 000000007544: 0BC1C114
	v_mul_f32_e32 v225, v20, v225                              // 000000007548: 0BC3C314
	v_mul_f32_e32 v226, v20, v226                              // 00000000754C: 0BC5C514
	v_mul_f32_e32 v227, v20, v227                              // 000000007550: 0BC7C714
	v_mul_f32_e32 v228, v25, v228                              // 000000007554: 0BC9C919
	v_mul_f32_e32 v229, v25, v229                              // 000000007558: 0BCBCB19
	v_mul_f32_e32 v230, v25, v230                              // 00000000755C: 0BCDCD19
	v_mul_f32_e32 v231, v25, v231                              // 000000007560: 0BCFCF19
	v_mul_f32_dpp v228, v13, v228 row_newbcast:0 row_mask:0xf bank_mask:0xf// 000000007564: 0BC9C8FA FF01500D
	v_mul_f32_dpp v229, v13, v229 row_newbcast:1 row_mask:0xf bank_mask:0xf// 00000000756C: 0BCBCAFA FF01510D
	v_mul_f32_dpp v230, v13, v230 row_newbcast:2 row_mask:0xf bank_mask:0xf// 000000007574: 0BCDCCFA FF01520D
	v_mul_f32_dpp v231, v13, v231 row_newbcast:3 row_mask:0xf bank_mask:0xf// 00000000757C: 0BCFCEFA FF01530D
	v_mul_f32_e32 v228, v21, v228                              // 000000007584: 0BC9C915
	v_mul_f32_e32 v229, v21, v229                              // 000000007588: 0BCBCB15
	v_mul_f32_e32 v230, v21, v230                              // 00000000758C: 0BCDCD15
	v_mul_f32_e32 v231, v21, v231                              // 000000007590: 0BCFCF15
	v_mul_f32_e32 v232, v24, v232                              // 000000007594: 0BD1D118
	v_mul_f32_e32 v233, v24, v233                              // 000000007598: 0BD3D318
	v_mul_f32_e32 v234, v24, v234                              // 00000000759C: 0BD5D518
	v_mul_f32_e32 v235, v24, v235                              // 0000000075A0: 0BD7D718
	v_mul_f32_dpp v232, v13, v232 row_newbcast:4 row_mask:0xf bank_mask:0xf// 0000000075A4: 0BD1D0FA FF01540D
	v_mul_f32_dpp v233, v13, v233 row_newbcast:5 row_mask:0xf bank_mask:0xf// 0000000075AC: 0BD3D2FA FF01550D
	v_mul_f32_dpp v234, v13, v234 row_newbcast:6 row_mask:0xf bank_mask:0xf// 0000000075B4: 0BD5D4FA FF01560D
	v_mul_f32_dpp v235, v13, v235 row_newbcast:7 row_mask:0xf bank_mask:0xf// 0000000075BC: 0BD7D6FA FF01570D
	v_mul_f32_e32 v232, v20, v232                              // 0000000075C4: 0BD1D114
	v_mul_f32_e32 v233, v20, v233                              // 0000000075C8: 0BD3D314
	v_mul_f32_e32 v234, v20, v234                              // 0000000075CC: 0BD5D514
	v_mul_f32_e32 v235, v20, v235                              // 0000000075D0: 0BD7D714
	v_mul_f32_e32 v236, v25, v236                              // 0000000075D4: 0BD9D919
	v_mul_f32_e32 v237, v25, v237                              // 0000000075D8: 0BDBDB19
	v_mul_f32_e32 v238, v25, v238                              // 0000000075DC: 0BDDDD19
	v_mul_f32_e32 v239, v25, v239                              // 0000000075E0: 0BDFDF19
	v_mul_f32_dpp v236, v13, v236 row_newbcast:4 row_mask:0xf bank_mask:0xf// 0000000075E4: 0BD9D8FA FF01540D
	v_mul_f32_dpp v237, v13, v237 row_newbcast:5 row_mask:0xf bank_mask:0xf// 0000000075EC: 0BDBDAFA FF01550D
	v_mul_f32_dpp v238, v13, v238 row_newbcast:6 row_mask:0xf bank_mask:0xf// 0000000075F4: 0BDDDCFA FF01560D
	v_mul_f32_dpp v239, v13, v239 row_newbcast:7 row_mask:0xf bank_mask:0xf// 0000000075FC: 0BDFDEFA FF01570D
	v_mul_f32_e32 v236, v21, v236                              // 000000007604: 0BD9D915
	v_mul_f32_e32 v237, v21, v237                              // 000000007608: 0BDBDB15
	v_mul_f32_e32 v238, v21, v238                              // 00000000760C: 0BDDDD15
	v_mul_f32_e32 v239, v21, v239                              // 000000007610: 0BDFDF15
	v_mul_f32_e32 v240, v24, v240                              // 000000007614: 0BE1E118
	v_mul_f32_e32 v241, v24, v241                              // 000000007618: 0BE3E318
	v_mul_f32_e32 v242, v24, v242                              // 00000000761C: 0BE5E518
	v_mul_f32_e32 v243, v24, v243                              // 000000007620: 0BE7E718
	v_mul_f32_dpp v240, v13, v240 row_newbcast:8 row_mask:0xf bank_mask:0xf// 000000007624: 0BE1E0FA FF01580D
	v_mul_f32_dpp v241, v13, v241 row_newbcast:9 row_mask:0xf bank_mask:0xf// 00000000762C: 0BE3E2FA FF01590D
	v_mul_f32_dpp v242, v13, v242 row_newbcast:10 row_mask:0xf bank_mask:0xf// 000000007634: 0BE5E4FA FF015A0D
	v_mul_f32_dpp v243, v13, v243 row_newbcast:11 row_mask:0xf bank_mask:0xf// 00000000763C: 0BE7E6FA FF015B0D
	v_mul_f32_e32 v240, v20, v240                              // 000000007644: 0BE1E114
	v_mul_f32_e32 v241, v20, v241                              // 000000007648: 0BE3E314
	v_mul_f32_e32 v242, v20, v242                              // 00000000764C: 0BE5E514
	v_mul_f32_e32 v243, v20, v243                              // 000000007650: 0BE7E714
	v_mul_f32_e32 v244, v25, v244                              // 000000007654: 0BE9E919
	v_mul_f32_e32 v245, v25, v245                              // 000000007658: 0BEBEB19
	v_mul_f32_e32 v246, v25, v246                              // 00000000765C: 0BEDED19
	v_mul_f32_e32 v247, v25, v247                              // 000000007660: 0BEFEF19
	v_mul_f32_dpp v244, v13, v244 row_newbcast:8 row_mask:0xf bank_mask:0xf// 000000007664: 0BE9E8FA FF01580D
	v_mul_f32_dpp v245, v13, v245 row_newbcast:9 row_mask:0xf bank_mask:0xf// 00000000766C: 0BEBEAFA FF01590D
	v_mul_f32_dpp v246, v13, v246 row_newbcast:10 row_mask:0xf bank_mask:0xf// 000000007674: 0BEDECFA FF015A0D
	v_mul_f32_dpp v247, v13, v247 row_newbcast:11 row_mask:0xf bank_mask:0xf// 00000000767C: 0BEFEEFA FF015B0D
	v_mul_f32_e32 v244, v21, v244                              // 000000007684: 0BE9E915
	v_mul_f32_e32 v245, v21, v245                              // 000000007688: 0BEBEB15
	v_mul_f32_e32 v246, v21, v246                              // 00000000768C: 0BEDED15
	v_mul_f32_e32 v247, v21, v247                              // 000000007690: 0BEFEF15
	v_mul_f32_e32 v248, v24, v248                              // 000000007694: 0BF1F118
	v_mul_f32_e32 v249, v24, v249                              // 000000007698: 0BF3F318
	v_mul_f32_e32 v250, v24, v250                              // 00000000769C: 0BF5F518
	v_mul_f32_e32 v251, v24, v251                              // 0000000076A0: 0BF7F718
	v_mul_f32_dpp v248, v13, v248 row_newbcast:12 row_mask:0xf bank_mask:0xf// 0000000076A4: 0BF1F0FA FF015C0D
	v_mul_f32_dpp v249, v13, v249 row_newbcast:13 row_mask:0xf bank_mask:0xf// 0000000076AC: 0BF3F2FA FF015D0D
	v_mul_f32_dpp v250, v13, v250 row_newbcast:14 row_mask:0xf bank_mask:0xf// 0000000076B4: 0BF5F4FA FF015E0D
	v_mul_f32_dpp v251, v13, v251 row_newbcast:15 row_mask:0xf bank_mask:0xf// 0000000076BC: 0BF7F6FA FF015F0D
	v_mul_f32_e32 v248, v20, v248                              // 0000000076C4: 0BF1F114
	v_mul_f32_e32 v249, v20, v249                              // 0000000076C8: 0BF3F314
	v_mul_f32_e32 v250, v20, v250                              // 0000000076CC: 0BF5F514
	v_mul_f32_e32 v251, v20, v251                              // 0000000076D0: 0BF7F714
	v_mul_f32_e32 v252, v25, v252                              // 0000000076D4: 0BF9F919
	v_mul_f32_e32 v253, v25, v253                              // 0000000076D8: 0BFBFB19
	v_mul_f32_e32 v254, v25, v254                              // 0000000076DC: 0BFDFD19
	v_mul_f32_e32 v255, v25, v255                              // 0000000076E0: 0BFFFF19
	v_mul_f32_dpp v252, v13, v252 row_newbcast:12 row_mask:0xf bank_mask:0xf// 0000000076E4: 0BF9F8FA FF015C0D
	v_mul_f32_dpp v253, v13, v253 row_newbcast:13 row_mask:0xf bank_mask:0xf// 0000000076EC: 0BFBFAFA FF015D0D
	v_mul_f32_dpp v254, v13, v254 row_newbcast:14 row_mask:0xf bank_mask:0xf// 0000000076F4: 0BFDFCFA FF015E0D
	v_mul_f32_dpp v255, v13, v255 row_newbcast:15 row_mask:0xf bank_mask:0xf// 0000000076FC: 0BFFFEFA FF015F0D
	v_mul_f32_e32 v252, v21, v252                              // 000000007704: 0BF9F915
	v_mul_f32_e32 v253, v21, v253                              // 000000007708: 0BFBFB15
	v_mul_f32_e32 v254, v21, v254                              // 00000000770C: 0BFDFD15
	v_mul_f32_e32 v255, v21, v255                              // 000000007710: 0BFFFF15
	v_cmp_u_f32_e64 s[48:49], v224, v224                       // 000000007714: D0480030 0003C1E0
	v_add3_u32 v46, v224, v49, 1                               // 00000000771C: D1FF002E 020663E0
	v_cndmask_b32_e64 v52, v46, v48, s[48:49]                  // 000000007724: D1000034 00C2612E
	v_cmp_u_f32_e64 s[48:49], v225, v225                       // 00000000772C: D0480030 0003C3E1
	v_add3_u32 v46, v225, v49, 1                               // 000000007734: D1FF002E 020663E1
	v_cndmask_b32_e64 v53, v46, v48, s[48:49]                  // 00000000773C: D1000035 00C2612E
	v_perm_b32 v224, v53, v52, s52                             // 000000007744: D1ED00E0 00D26935
	v_cmp_u_f32_e64 s[48:49], v226, v226                       // 00000000774C: D0480030 0003C5E2
	v_add3_u32 v46, v226, v49, 1                               // 000000007754: D1FF002E 020663E2
	v_cndmask_b32_e64 v52, v46, v48, s[48:49]                  // 00000000775C: D1000034 00C2612E
	v_cmp_u_f32_e64 s[48:49], v227, v227                       // 000000007764: D0480030 0003C7E3
	v_add3_u32 v46, v227, v49, 1                               // 00000000776C: D1FF002E 020663E3
	v_cndmask_b32_e64 v53, v46, v48, s[48:49]                  // 000000007774: D1000035 00C2612E
	v_perm_b32 v225, v53, v52, s52                             // 00000000777C: D1ED00E1 00D26935
	v_cmp_u_f32_e64 s[48:49], v228, v228                       // 000000007784: D0480030 0003C9E4
	v_add3_u32 v46, v228, v49, 1                               // 00000000778C: D1FF002E 020663E4
	v_cndmask_b32_e64 v52, v46, v48, s[48:49]                  // 000000007794: D1000034 00C2612E
	v_cmp_u_f32_e64 s[48:49], v229, v229                       // 00000000779C: D0480030 0003CBE5
	v_add3_u32 v46, v229, v49, 1                               // 0000000077A4: D1FF002E 020663E5
	v_cndmask_b32_e64 v53, v46, v48, s[48:49]                  // 0000000077AC: D1000035 00C2612E
	v_perm_b32 v226, v53, v52, s52                             // 0000000077B4: D1ED00E2 00D26935
	v_cmp_u_f32_e64 s[48:49], v230, v230                       // 0000000077BC: D0480030 0003CDE6
	v_add3_u32 v46, v230, v49, 1                               // 0000000077C4: D1FF002E 020663E6
	v_cndmask_b32_e64 v52, v46, v48, s[48:49]                  // 0000000077CC: D1000034 00C2612E
	v_cmp_u_f32_e64 s[48:49], v231, v231                       // 0000000077D4: D0480030 0003CFE7
	v_add3_u32 v46, v231, v49, 1                               // 0000000077DC: D1FF002E 020663E7
	v_cndmask_b32_e64 v53, v46, v48, s[48:49]                  // 0000000077E4: D1000035 00C2612E
	v_perm_b32 v227, v53, v52, s52                             // 0000000077EC: D1ED00E3 00D26935
	v_cmp_u_f32_e64 s[48:49], v232, v232                       // 0000000077F4: D0480030 0003D1E8
	v_add3_u32 v46, v232, v49, 1                               // 0000000077FC: D1FF002E 020663E8
	v_cndmask_b32_e64 v52, v46, v48, s[48:49]                  // 000000007804: D1000034 00C2612E
	v_cmp_u_f32_e64 s[48:49], v233, v233                       // 00000000780C: D0480030 0003D3E9
	v_add3_u32 v46, v233, v49, 1                               // 000000007814: D1FF002E 020663E9
	v_cndmask_b32_e64 v53, v46, v48, s[48:49]                  // 00000000781C: D1000035 00C2612E
	v_perm_b32 v228, v53, v52, s52                             // 000000007824: D1ED00E4 00D26935
	v_cmp_u_f32_e64 s[48:49], v234, v234                       // 00000000782C: D0480030 0003D5EA
	v_add3_u32 v46, v234, v49, 1                               // 000000007834: D1FF002E 020663EA
	v_cndmask_b32_e64 v52, v46, v48, s[48:49]                  // 00000000783C: D1000034 00C2612E
	v_cmp_u_f32_e64 s[48:49], v235, v235                       // 000000007844: D0480030 0003D7EB
	v_add3_u32 v46, v235, v49, 1                               // 00000000784C: D1FF002E 020663EB
	v_cndmask_b32_e64 v53, v46, v48, s[48:49]                  // 000000007854: D1000035 00C2612E
	v_perm_b32 v229, v53, v52, s52                             // 00000000785C: D1ED00E5 00D26935
	v_cmp_u_f32_e64 s[48:49], v236, v236                       // 000000007864: D0480030 0003D9EC
	v_add3_u32 v46, v236, v49, 1                               // 00000000786C: D1FF002E 020663EC
	v_cndmask_b32_e64 v52, v46, v48, s[48:49]                  // 000000007874: D1000034 00C2612E
	v_cmp_u_f32_e64 s[48:49], v237, v237                       // 00000000787C: D0480030 0003DBED
	v_add3_u32 v46, v237, v49, 1                               // 000000007884: D1FF002E 020663ED
	v_cndmask_b32_e64 v53, v46, v48, s[48:49]                  // 00000000788C: D1000035 00C2612E
	v_perm_b32 v230, v53, v52, s52                             // 000000007894: D1ED00E6 00D26935
	v_cmp_u_f32_e64 s[48:49], v238, v238                       // 00000000789C: D0480030 0003DDEE
	v_add3_u32 v46, v238, v49, 1                               // 0000000078A4: D1FF002E 020663EE
	v_cndmask_b32_e64 v52, v46, v48, s[48:49]                  // 0000000078AC: D1000034 00C2612E
	v_cmp_u_f32_e64 s[48:49], v239, v239                       // 0000000078B4: D0480030 0003DFEF
	v_add3_u32 v46, v239, v49, 1                               // 0000000078BC: D1FF002E 020663EF
	v_cndmask_b32_e64 v53, v46, v48, s[48:49]                  // 0000000078C4: D1000035 00C2612E
	v_perm_b32 v231, v53, v52, s52                             // 0000000078CC: D1ED00E7 00D26935
	v_cmp_u_f32_e64 s[48:49], v240, v240                       // 0000000078D4: D0480030 0003E1F0
	v_add3_u32 v46, v240, v49, 1                               // 0000000078DC: D1FF002E 020663F0
	v_cndmask_b32_e64 v52, v46, v48, s[48:49]                  // 0000000078E4: D1000034 00C2612E
	v_cmp_u_f32_e64 s[48:49], v241, v241                       // 0000000078EC: D0480030 0003E3F1
	v_add3_u32 v46, v241, v49, 1                               // 0000000078F4: D1FF002E 020663F1
	v_cndmask_b32_e64 v53, v46, v48, s[48:49]                  // 0000000078FC: D1000035 00C2612E
	v_perm_b32 v232, v53, v52, s52                             // 000000007904: D1ED00E8 00D26935
	v_cmp_u_f32_e64 s[48:49], v242, v242                       // 00000000790C: D0480030 0003E5F2
	v_add3_u32 v46, v242, v49, 1                               // 000000007914: D1FF002E 020663F2
	v_cndmask_b32_e64 v52, v46, v48, s[48:49]                  // 00000000791C: D1000034 00C2612E
	v_cmp_u_f32_e64 s[48:49], v243, v243                       // 000000007924: D0480030 0003E7F3
	v_add3_u32 v46, v243, v49, 1                               // 00000000792C: D1FF002E 020663F3
	v_cndmask_b32_e64 v53, v46, v48, s[48:49]                  // 000000007934: D1000035 00C2612E
	v_perm_b32 v233, v53, v52, s52                             // 00000000793C: D1ED00E9 00D26935
	v_cmp_u_f32_e64 s[48:49], v244, v244                       // 000000007944: D0480030 0003E9F4
	v_add3_u32 v46, v244, v49, 1                               // 00000000794C: D1FF002E 020663F4
	v_cndmask_b32_e64 v52, v46, v48, s[48:49]                  // 000000007954: D1000034 00C2612E
	v_cmp_u_f32_e64 s[48:49], v245, v245                       // 00000000795C: D0480030 0003EBF5
	v_add3_u32 v46, v245, v49, 1                               // 000000007964: D1FF002E 020663F5
	v_cndmask_b32_e64 v53, v46, v48, s[48:49]                  // 00000000796C: D1000035 00C2612E
	v_perm_b32 v234, v53, v52, s52                             // 000000007974: D1ED00EA 00D26935
	v_cmp_u_f32_e64 s[48:49], v246, v246                       // 00000000797C: D0480030 0003EDF6
	v_add3_u32 v46, v246, v49, 1                               // 000000007984: D1FF002E 020663F6
	v_cndmask_b32_e64 v52, v46, v48, s[48:49]                  // 00000000798C: D1000034 00C2612E
	v_cmp_u_f32_e64 s[48:49], v247, v247                       // 000000007994: D0480030 0003EFF7
	v_add3_u32 v46, v247, v49, 1                               // 00000000799C: D1FF002E 020663F7
	v_cndmask_b32_e64 v53, v46, v48, s[48:49]                  // 0000000079A4: D1000035 00C2612E
	v_perm_b32 v235, v53, v52, s52                             // 0000000079AC: D1ED00EB 00D26935
	v_cmp_u_f32_e64 s[48:49], v248, v248                       // 0000000079B4: D0480030 0003F1F8
	v_add3_u32 v46, v248, v49, 1                               // 0000000079BC: D1FF002E 020663F8
	v_cndmask_b32_e64 v52, v46, v48, s[48:49]                  // 0000000079C4: D1000034 00C2612E
	v_cmp_u_f32_e64 s[48:49], v249, v249                       // 0000000079CC: D0480030 0003F3F9
	v_add3_u32 v46, v249, v49, 1                               // 0000000079D4: D1FF002E 020663F9
	v_cndmask_b32_e64 v53, v46, v48, s[48:49]                  // 0000000079DC: D1000035 00C2612E
	v_perm_b32 v236, v53, v52, s52                             // 0000000079E4: D1ED00EC 00D26935
	v_cmp_u_f32_e64 s[48:49], v250, v250                       // 0000000079EC: D0480030 0003F5FA
	v_add3_u32 v46, v250, v49, 1                               // 0000000079F4: D1FF002E 020663FA
	v_cndmask_b32_e64 v52, v46, v48, s[48:49]                  // 0000000079FC: D1000034 00C2612E
	v_cmp_u_f32_e64 s[48:49], v251, v251                       // 000000007A04: D0480030 0003F7FB
	v_add3_u32 v46, v251, v49, 1                               // 000000007A0C: D1FF002E 020663FB
	v_cndmask_b32_e64 v53, v46, v48, s[48:49]                  // 000000007A14: D1000035 00C2612E
	v_perm_b32 v237, v53, v52, s52                             // 000000007A1C: D1ED00ED 00D26935
	v_cmp_u_f32_e64 s[48:49], v252, v252                       // 000000007A24: D0480030 0003F9FC
	v_add3_u32 v46, v252, v49, 1                               // 000000007A2C: D1FF002E 020663FC
	v_cndmask_b32_e64 v52, v46, v48, s[48:49]                  // 000000007A34: D1000034 00C2612E
	v_cmp_u_f32_e64 s[48:49], v253, v253                       // 000000007A3C: D0480030 0003FBFD
	v_add3_u32 v46, v253, v49, 1                               // 000000007A44: D1FF002E 020663FD
	v_cndmask_b32_e64 v53, v46, v48, s[48:49]                  // 000000007A4C: D1000035 00C2612E
	v_perm_b32 v238, v53, v52, s52                             // 000000007A54: D1ED00EE 00D26935
	v_cmp_u_f32_e64 s[48:49], v254, v254                       // 000000007A5C: D0480030 0003FDFE
	v_add3_u32 v46, v254, v49, 1                               // 000000007A64: D1FF002E 020663FE
	v_cndmask_b32_e64 v52, v46, v48, s[48:49]                  // 000000007A6C: D1000034 00C2612E
	v_cmp_u_f32_e64 s[48:49], v255, v255                       // 000000007A74: D0480030 0003FFFF
	v_add3_u32 v46, v255, v49, 1                               // 000000007A7C: D1FF002E 020663FF
	v_cndmask_b32_e64 v53, v46, v48, s[48:49]                  // 000000007A84: D1000035 00C2612E
	v_perm_b32 v239, v53, v52, s52                             // 000000007A8C: D1ED00EF 00D26935
	ds_write_b64 v3, v[224:225] offset:35072                   // 000000007A94: D89A8900 0000E003
	ds_write_b64 v3, v[226:227] offset:43776                   // 000000007A9C: D89AAB00 0000E203
	ds_write_b64 v3, v[228:229] offset:37248                   // 000000007AA4: D89A9180 0000E403
	ds_write_b64 v3, v[230:231] offset:45952                   // 000000007AAC: D89AB380 0000E603
	ds_write_b64 v3, v[232:233] offset:39424                   // 000000007AB4: D89A9A00 0000E803
	ds_write_b64 v3, v[234:235] offset:48128                   // 000000007ABC: D89ABC00 0000EA03
	ds_write_b64 v3, v[236:237] offset:41600                   // 000000007AC4: D89AA280 0000EC03
	ds_write_b64 v3, v[238:239] offset:50304                   // 000000007ACC: D89AC480 0000EE03
	s_waitcnt lgkmcnt(0)                                       // 000000007AD4: BF8CC07F
	s_barrier                                                  // 000000007AD8: BF8A0000
	ds_read_b32 v64, v4 offset:35072                           // 000000007ADC: D86C8900 40000004
	ds_read_b32 v65, v4 offset:39424                           // 000000007AE4: D86C9A00 41000004
	ds_read_b32 v66, v4 offset:35104                           // 000000007AEC: D86C8920 42000004
	ds_read_b32 v67, v4 offset:39456                           // 000000007AF4: D86C9A20 43000004
	ds_read_b32 v68, v4 offset:35136                           // 000000007AFC: D86C8940 44000004
	ds_read_b32 v69, v4 offset:39488                           // 000000007B04: D86C9A40 45000004
	ds_read_b32 v70, v4 offset:35168                           // 000000007B0C: D86C8960 46000004
	ds_read_b32 v71, v4 offset:39520                           // 000000007B14: D86C9A60 47000004
	ds_read_b32 v72, v4 offset:43776                           // 000000007B1C: D86CAB00 48000004
	ds_read_b32 v73, v4 offset:48128                           // 000000007B24: D86CBC00 49000004
	ds_read_b32 v74, v4 offset:43808                           // 000000007B2C: D86CAB20 4A000004
	ds_read_b32 v75, v4 offset:48160                           // 000000007B34: D86CBC20 4B000004
	ds_read_b32 v76, v4 offset:43840                           // 000000007B3C: D86CAB40 4C000004
	ds_read_b32 v77, v4 offset:48192                           // 000000007B44: D86CBC40 4D000004
	ds_read_b32 v78, v4 offset:43872                           // 000000007B4C: D86CAB60 4E000004
	ds_read_b32 v79, v4 offset:48224                           // 000000007B54: D86CBC60 4F000004
	s_waitcnt lgkmcnt(0)                                       // 000000007B5C: BF8CC07F
	s_mov_b64 exec, s[20:21]                                   // 000000007B60: BEFE0114
	global_atomic_pk_add_bf16 v80, v64, s[8:9]                 // 000000007B64: DD488000 00084050
	s_mov_b64 exec, s[36:37]                                   // 000000007B6C: BEFE0124
	s_mov_b64 exec, s[20:21]                                   // 000000007B70: BEFE0114
	global_atomic_pk_add_bf16 v80, v65, s[8:9] offset:256      // 000000007B74: DD488100 00084150
	s_mov_b64 exec, s[36:37]                                   // 000000007B7C: BEFE0124
	s_mov_b64 exec, s[22:23]                                   // 000000007B80: BEFE0116
	global_atomic_pk_add_bf16 v82, v66, s[8:9]                 // 000000007B84: DD488000 00084252
	s_mov_b64 exec, s[36:37]                                   // 000000007B8C: BEFE0124
	s_mov_b64 exec, s[22:23]                                   // 000000007B90: BEFE0116
	global_atomic_pk_add_bf16 v82, v67, s[8:9] offset:256      // 000000007B94: DD488100 00084352
	s_mov_b64 exec, s[36:37]                                   // 000000007B9C: BEFE0124
	s_mov_b64 exec, s[24:25]                                   // 000000007BA0: BEFE0118
	global_atomic_pk_add_bf16 v84, v68, s[8:9]                 // 000000007BA4: DD488000 00084454
	s_mov_b64 exec, s[36:37]                                   // 000000007BAC: BEFE0124
	s_mov_b64 exec, s[24:25]                                   // 000000007BB0: BEFE0118
	global_atomic_pk_add_bf16 v84, v69, s[8:9] offset:256      // 000000007BB4: DD488100 00084554
	s_mov_b64 exec, s[36:37]                                   // 000000007BBC: BEFE0124
	s_mov_b64 exec, s[26:27]                                   // 000000007BC0: BEFE011A
	global_atomic_pk_add_bf16 v86, v70, s[8:9]                 // 000000007BC4: DD488000 00084656
	s_mov_b64 exec, s[36:37]                                   // 000000007BCC: BEFE0124
	s_mov_b64 exec, s[26:27]                                   // 000000007BD0: BEFE011A
	global_atomic_pk_add_bf16 v86, v71, s[8:9] offset:256      // 000000007BD4: DD488100 00084756
	s_mov_b64 exec, s[36:37]                                   // 000000007BDC: BEFE0124
	s_mov_b64 exec, s[28:29]                                   // 000000007BE0: BEFE011C
	global_atomic_pk_add_bf16 v88, v72, s[8:9]                 // 000000007BE4: DD488000 00084858
	s_mov_b64 exec, s[36:37]                                   // 000000007BEC: BEFE0124
	s_mov_b64 exec, s[28:29]                                   // 000000007BF0: BEFE011C
	global_atomic_pk_add_bf16 v88, v73, s[8:9] offset:256      // 000000007BF4: DD488100 00084958
	s_mov_b64 exec, s[36:37]                                   // 000000007BFC: BEFE0124
	s_mov_b64 exec, s[30:31]                                   // 000000007C00: BEFE011E
	global_atomic_pk_add_bf16 v90, v74, s[8:9]                 // 000000007C04: DD488000 00084A5A
	s_mov_b64 exec, s[36:37]                                   // 000000007C0C: BEFE0124
	s_mov_b64 exec, s[30:31]                                   // 000000007C10: BEFE011E
	global_atomic_pk_add_bf16 v90, v75, s[8:9] offset:256      // 000000007C14: DD488100 00084B5A
	s_mov_b64 exec, s[36:37]                                   // 000000007C1C: BEFE0124
	s_mov_b64 exec, s[32:33]                                   // 000000007C20: BEFE0120
	global_atomic_pk_add_bf16 v92, v76, s[8:9]                 // 000000007C24: DD488000 00084C5C
	s_mov_b64 exec, s[36:37]                                   // 000000007C2C: BEFE0124
	s_mov_b64 exec, s[32:33]                                   // 000000007C30: BEFE0120
	global_atomic_pk_add_bf16 v92, v77, s[8:9] offset:256      // 000000007C34: DD488100 00084D5C
	s_mov_b64 exec, s[36:37]                                   // 000000007C3C: BEFE0124
	s_mov_b64 exec, s[34:35]                                   // 000000007C40: BEFE0122
	global_atomic_pk_add_bf16 v94, v78, s[8:9]                 // 000000007C44: DD488000 00084E5E
	s_mov_b64 exec, s[36:37]                                   // 000000007C4C: BEFE0124
	s_mov_b64 exec, s[34:35]                                   // 000000007C50: BEFE0122
	global_atomic_pk_add_bf16 v94, v79, s[8:9] offset:256      // 000000007C54: DD488100 00084F5E
	s_mov_b64 exec, s[36:37]                                   // 000000007C5C: BEFE0124
	s_add_u32 s8, s59, s8                                      // 000000007C60: 8008083B
	s_addc_u32 s9, 0, s9                                       // 000000007C64: 82090980
	s_addk_i32 s80, 0x100                                      // 000000007C68: B7500100
	s_cmp_lt_i32 s80, s81                                      // 000000007C6C: BF045150
	s_cbranch_scc0 label_145E                                  // 000000007C70: BF840001
	s_branch label_0DE7                                        // 000000007C74: BF82F989

0000000000007c78 <label_145E>:
	s_nop 0                                                    // 000000007C78: BF800000
	s_nop 0                                                    // 000000007C7C: BF800000
	s_branch label_2617                                        // 000000007C80: BF8211B6

0000000000007c84 <label_1461>:
	s_waitcnt vmcnt(24) lgkmcnt(0)                             // 000000007C84: BF8C4078
	s_barrier                                                  // 000000007C88: BF8A0000
	v_mfma_f32_16x16x32_fp8_fp8 v[128:131], a[0:1], v[192:193], v[128:131]// 000000007C8C: D3F30080 0E038100
	buffer_load_dwordx4 a[128:131], v34, s[92:95], 0 offen     // 000000007C94: E05C1000 80978022
	v_mfma_f32_16x16x32_fp8_fp8 v[128:131], a[2:3], v[194:195], v[128:131]// 000000007C9C: D3F30080 0E038502
	v_mfma_f32_16x16x32_fp8_fp8 v[128:131], a[4:5], v[196:197], v[128:131]// 000000007CA4: D3F30080 0E038904
	buffer_load_dword v26, s[20:23], 0 offen lds               // 000000007CAC: E0511000 8005001A
	s_add_u32 m0, 0x100, s51                                   // 000000007CB4: 807C33FF 00000100
	v_mfma_f32_16x16x32_fp8_fp8 v[128:131], a[6:7], v[198:199], v[128:131]// 000000007CBC: D3F30080 0E038D06
	v_mfma_f32_16x16x32_fp8_fp8 v[128:131], a[8:9], v[200:201], v[128:131]// 000000007CC4: D3F30080 0E039108
	buffer_load_dwordx4 a[132:135], v34, s[92:95], 0 offen offset:1024// 000000007CCC: E05C1400 80978422
	v_mfma_f32_16x16x32_fp8_fp8 v[128:131], a[10:11], v[202:203], v[128:131]// 000000007CD4: D3F30080 0E03950A
	v_mfma_f32_16x16x32_fp8_fp8 v[128:131], a[12:13], v[204:205], v[128:131]// 000000007CDC: D3F30080 0E03990C
	buffer_load_dword v27, s[20:23], 0 offen lds               // 000000007CE4: E0511000 8005001B
	s_add_u32 m0, 0x200, s51                                   // 000000007CEC: 807C33FF 00000200
	v_mfma_f32_16x16x32_fp8_fp8 v[128:131], a[14:15], v[206:207], v[128:131]// 000000007CF4: D3F30080 0E039D0E
	v_mfma_f32_16x16x32_fp8_fp8 v[132:135], a[0:1], v[208:209], v[132:135]// 000000007CFC: D3F30084 0E13A100
	buffer_load_dwordx4 a[136:139], v34, s[92:95], 0 offen offset:2048// 000000007D04: E05C1800 80978822
	v_mfma_f32_16x16x32_fp8_fp8 v[132:135], a[2:3], v[210:211], v[132:135]// 000000007D0C: D3F30084 0E13A502
	v_mfma_f32_16x16x32_fp8_fp8 v[132:135], a[4:5], v[212:213], v[132:135]// 000000007D14: D3F30084 0E13A904
	buffer_load_dword v28, s[20:23], 0 offen lds               // 000000007D1C: E0511000 8005001C
	s_add_u32 m0, 0x300, s51                                   // 000000007D24: 807C33FF 00000300
	v_mfma_f32_16x16x32_fp8_fp8 v[132:135], a[6:7], v[214:215], v[132:135]// 000000007D2C: D3F30084 0E13AD06
	v_mfma_f32_16x16x32_fp8_fp8 v[132:135], a[8:9], v[216:217], v[132:135]// 000000007D34: D3F30084 0E13B108
	buffer_load_dwordx4 a[140:143], v34, s[92:95], 0 offen offset:3072// 000000007D3C: E05C1C00 80978C22
	v_mfma_f32_16x16x32_fp8_fp8 v[132:135], a[10:11], v[218:219], v[132:135]// 000000007D44: D3F30084 0E13B50A
	v_mfma_f32_16x16x32_fp8_fp8 v[132:135], a[12:13], v[220:221], v[132:135]// 000000007D4C: D3F30084 0E13B90C
	buffer_load_dword v29, s[20:23], 0 offen lds               // 000000007D54: E0511000 8005001D
	s_add_u32 m0, 0x400, s51                                   // 000000007D5C: 807C33FF 00000400
	v_mfma_f32_16x16x32_fp8_fp8 v[132:135], a[14:15], v[222:223], v[132:135]// 000000007D64: D3F30084 0E13BD0E
	v_mfma_f32_16x16x32_fp8_fp8 v[136:139], a[16:17], v[192:193], v[136:139]// 000000007D6C: D3F30088 0E238110
	buffer_load_dwordx4 a[144:147], v35, s[92:95], 0 offen     // 000000007D74: E05C1000 80979023
	v_mfma_f32_16x16x32_fp8_fp8 v[136:139], a[18:19], v[194:195], v[136:139]// 000000007D7C: D3F30088 0E238512
	v_mfma_f32_16x16x32_fp8_fp8 v[136:139], a[20:21], v[196:197], v[136:139]// 000000007D84: D3F30088 0E238914
	buffer_load_dword v30, s[20:23], 0 offen lds               // 000000007D8C: E0511000 8005001E
	s_add_u32 m0, 0x500, s51                                   // 000000007D94: 807C33FF 00000500
	v_mfma_f32_16x16x32_fp8_fp8 v[136:139], a[22:23], v[198:199], v[136:139]// 000000007D9C: D3F30088 0E238D16
	v_mfma_f32_16x16x32_fp8_fp8 v[136:139], a[24:25], v[200:201], v[136:139]// 000000007DA4: D3F30088 0E239118
	buffer_load_dwordx4 a[148:151], v35, s[92:95], 0 offen offset:1024// 000000007DAC: E05C1400 80979423
	v_mfma_f32_16x16x32_fp8_fp8 v[136:139], a[26:27], v[202:203], v[136:139]// 000000007DB4: D3F30088 0E23951A
	v_mfma_f32_16x16x32_fp8_fp8 v[136:139], a[28:29], v[204:205], v[136:139]// 000000007DBC: D3F30088 0E23991C
	buffer_load_dword v31, s[20:23], 0 offen lds               // 000000007DC4: E0511000 8005001F
	s_add_u32 m0, 0x600, s51                                   // 000000007DCC: 807C33FF 00000600
	v_mfma_f32_16x16x32_fp8_fp8 v[136:139], a[30:31], v[206:207], v[136:139]// 000000007DD4: D3F30088 0E239D1E
	v_mfma_f32_16x16x32_fp8_fp8 v[140:143], a[16:17], v[208:209], v[140:143]// 000000007DDC: D3F3008C 0E33A110
	buffer_load_dwordx4 a[152:155], v35, s[92:95], 0 offen offset:2048// 000000007DE4: E05C1800 80979823
	v_mfma_f32_16x16x32_fp8_fp8 v[140:143], a[18:19], v[210:211], v[140:143]// 000000007DEC: D3F3008C 0E33A512
	v_mfma_f32_16x16x32_fp8_fp8 v[140:143], a[20:21], v[212:213], v[140:143]// 000000007DF4: D3F3008C 0E33A914
	buffer_load_dword v32, s[20:23], 0 offen lds               // 000000007DFC: E0511000 80050020
	s_add_u32 m0, 0x700, s51                                   // 000000007E04: 807C33FF 00000700
	v_mfma_f32_16x16x32_fp8_fp8 v[140:143], a[22:23], v[214:215], v[140:143]// 000000007E0C: D3F3008C 0E33AD16
	v_mfma_f32_16x16x32_fp8_fp8 v[140:143], a[24:25], v[216:217], v[140:143]// 000000007E14: D3F3008C 0E33B118
	buffer_load_dwordx4 a[156:159], v35, s[92:95], 0 offen offset:3072// 000000007E1C: E05C1C00 80979C23
	v_mfma_f32_16x16x32_fp8_fp8 v[140:143], a[26:27], v[218:219], v[140:143]// 000000007E24: D3F3008C 0E33B51A
	v_mfma_f32_16x16x32_fp8_fp8 v[140:143], a[28:29], v[220:221], v[140:143]// 000000007E2C: D3F3008C 0E33B91C
	buffer_load_dword v33, s[20:23], 0 offen lds               // 000000007E34: E0511000 80050021
	s_add_u32 m0, 0, s50                                       // 000000007E3C: 807C3280
	v_mfma_f32_16x16x32_fp8_fp8 v[140:143], a[30:31], v[222:223], v[140:143]// 000000007E40: D3F3008C 0E33BD1E
	s_waitcnt vmcnt(36)                                        // 000000007E48: BF8C8F74
	v_mfma_f32_16x16x32_fp8_fp8 v[144:147], a[32:33], v[192:193], v[144:147]// 000000007E4C: D3F30090 0E438120
	buffer_load_dwordx4 a[160:163], v36, s[92:95], 0 offen     // 000000007E54: E05C1000 8097A024
	v_mfma_f32_16x16x32_fp8_fp8 v[144:147], a[34:35], v[194:195], v[144:147]// 000000007E5C: D3F30090 0E438522
	v_mfma_f32_16x16x32_fp8_fp8 v[144:147], a[36:37], v[196:197], v[144:147]// 000000007E64: D3F30090 0E438924
	v_mfma_f32_16x16x32_fp8_fp8 v[144:147], a[38:39], v[198:199], v[144:147]// 000000007E6C: D3F30090 0E438D26
	v_mfma_f32_16x16x32_fp8_fp8 v[144:147], a[40:41], v[200:201], v[144:147]// 000000007E74: D3F30090 0E439128
	buffer_load_dwordx4 a[164:167], v36, s[92:95], 0 offen offset:1024// 000000007E7C: E05C1400 8097A424
	v_mfma_f32_16x16x32_fp8_fp8 v[144:147], a[42:43], v[202:203], v[144:147]// 000000007E84: D3F30090 0E43952A
	v_mfma_f32_16x16x32_fp8_fp8 v[144:147], a[44:45], v[204:205], v[144:147]// 000000007E8C: D3F30090 0E43992C
	v_mfma_f32_16x16x32_fp8_fp8 v[144:147], a[46:47], v[206:207], v[144:147]// 000000007E94: D3F30090 0E439D2E
	v_mfma_f32_16x16x32_fp8_fp8 v[148:151], a[32:33], v[208:209], v[148:151]// 000000007E9C: D3F30094 0E53A120
	buffer_load_dwordx4 a[168:171], v36, s[92:95], 0 offen offset:2048// 000000007EA4: E05C1800 8097A824
	v_mfma_f32_16x16x32_fp8_fp8 v[148:151], a[34:35], v[210:211], v[148:151]// 000000007EAC: D3F30094 0E53A522
	v_mfma_f32_16x16x32_fp8_fp8 v[148:151], a[36:37], v[212:213], v[148:151]// 000000007EB4: D3F30094 0E53A924
	v_mfma_f32_16x16x32_fp8_fp8 v[148:151], a[38:39], v[214:215], v[148:151]// 000000007EBC: D3F30094 0E53AD26
	v_mfma_f32_16x16x32_fp8_fp8 v[148:151], a[40:41], v[216:217], v[148:151]// 000000007EC4: D3F30094 0E53B128
	buffer_load_dwordx4 a[172:175], v36, s[92:95], 0 offen offset:3072// 000000007ECC: E05C1C00 8097AC24
	v_mfma_f32_16x16x32_fp8_fp8 v[148:151], a[42:43], v[218:219], v[148:151]// 000000007ED4: D3F30094 0E53B52A
	v_mfma_f32_16x16x32_fp8_fp8 v[148:151], a[44:45], v[220:221], v[148:151]// 000000007EDC: D3F30094 0E53B92C
	v_mfma_f32_16x16x32_fp8_fp8 v[148:151], a[46:47], v[222:223], v[148:151]// 000000007EE4: D3F30094 0E53BD2E
	s_waitcnt vmcnt(36)                                        // 000000007EEC: BF8C8F74
	v_mfma_f32_16x16x32_fp8_fp8 v[152:155], a[48:49], v[192:193], v[152:155]// 000000007EF0: D3F30098 0E638130
	buffer_load_dwordx4 a[176:179], v37, s[92:95], 0 offen     // 000000007EF8: E05C1000 8097B025
	v_mfma_f32_16x16x32_fp8_fp8 v[152:155], a[50:51], v[194:195], v[152:155]// 000000007F00: D3F30098 0E638532
	v_mfma_f32_16x16x32_fp8_fp8 v[152:155], a[52:53], v[196:197], v[152:155]// 000000007F08: D3F30098 0E638934
	v_mfma_f32_16x16x32_fp8_fp8 v[152:155], a[54:55], v[198:199], v[152:155]// 000000007F10: D3F30098 0E638D36
	v_mfma_f32_16x16x32_fp8_fp8 v[152:155], a[56:57], v[200:201], v[152:155]// 000000007F18: D3F30098 0E639138
	buffer_load_dwordx4 a[180:183], v37, s[92:95], 0 offen offset:1024// 000000007F20: E05C1400 8097B425
	v_mfma_f32_16x16x32_fp8_fp8 v[152:155], a[58:59], v[202:203], v[152:155]// 000000007F28: D3F30098 0E63953A
	v_mfma_f32_16x16x32_fp8_fp8 v[152:155], a[60:61], v[204:205], v[152:155]// 000000007F30: D3F30098 0E63993C
	v_mfma_f32_16x16x32_fp8_fp8 v[152:155], a[62:63], v[206:207], v[152:155]// 000000007F38: D3F30098 0E639D3E
	v_mfma_f32_16x16x32_fp8_fp8 v[156:159], a[48:49], v[208:209], v[156:159]// 000000007F40: D3F3009C 0E73A130
	buffer_load_dwordx4 a[184:187], v37, s[92:95], 0 offen offset:2048// 000000007F48: E05C1800 8097B825
	v_mfma_f32_16x16x32_fp8_fp8 v[156:159], a[50:51], v[210:211], v[156:159]// 000000007F50: D3F3009C 0E73A532
	v_mfma_f32_16x16x32_fp8_fp8 v[156:159], a[52:53], v[212:213], v[156:159]// 000000007F58: D3F3009C 0E73A934
	v_mfma_f32_16x16x32_fp8_fp8 v[156:159], a[54:55], v[214:215], v[156:159]// 000000007F60: D3F3009C 0E73AD36
	v_mfma_f32_16x16x32_fp8_fp8 v[156:159], a[56:57], v[216:217], v[156:159]// 000000007F68: D3F3009C 0E73B138
	buffer_load_dwordx4 a[188:191], v37, s[92:95], 0 offen offset:3072// 000000007F70: E05C1C00 8097BC25
	v_mfma_f32_16x16x32_fp8_fp8 v[156:159], a[58:59], v[218:219], v[156:159]// 000000007F78: D3F3009C 0E73B53A
	v_mfma_f32_16x16x32_fp8_fp8 v[156:159], a[60:61], v[220:221], v[156:159]// 000000007F80: D3F3009C 0E73B93C
	v_mfma_f32_16x16x32_fp8_fp8 v[156:159], a[62:63], v[222:223], v[156:159]// 000000007F88: D3F3009C 0E73BD3E
	s_waitcnt vmcnt(36)                                        // 000000007F90: BF8C8F74
	v_mfma_f32_16x16x32_fp8_fp8 v[160:163], a[64:65], v[192:193], v[160:163]// 000000007F94: D3F300A0 0E838140
	buffer_load_dwordx4 a[192:195], v38, s[92:95], 0 offen     // 000000007F9C: E05C1000 8097C026
	v_mfma_f32_16x16x32_fp8_fp8 v[160:163], a[66:67], v[194:195], v[160:163]// 000000007FA4: D3F300A0 0E838542
	v_mfma_f32_16x16x32_fp8_fp8 v[160:163], a[68:69], v[196:197], v[160:163]// 000000007FAC: D3F300A0 0E838944
	v_mfma_f32_16x16x32_fp8_fp8 v[160:163], a[70:71], v[198:199], v[160:163]// 000000007FB4: D3F300A0 0E838D46
	v_mfma_f32_16x16x32_fp8_fp8 v[160:163], a[72:73], v[200:201], v[160:163]// 000000007FBC: D3F300A0 0E839148
	buffer_load_dwordx4 a[196:199], v38, s[92:95], 0 offen offset:1024// 000000007FC4: E05C1400 8097C426
	v_mfma_f32_16x16x32_fp8_fp8 v[160:163], a[74:75], v[202:203], v[160:163]// 000000007FCC: D3F300A0 0E83954A
	v_mfma_f32_16x16x32_fp8_fp8 v[160:163], a[76:77], v[204:205], v[160:163]// 000000007FD4: D3F300A0 0E83994C
	v_mfma_f32_16x16x32_fp8_fp8 v[160:163], a[78:79], v[206:207], v[160:163]// 000000007FDC: D3F300A0 0E839D4E
	v_mfma_f32_16x16x32_fp8_fp8 v[164:167], a[64:65], v[208:209], v[164:167]// 000000007FE4: D3F300A4 0E93A140
	buffer_load_dwordx4 a[200:203], v38, s[92:95], 0 offen offset:2048// 000000007FEC: E05C1800 8097C826
	v_mfma_f32_16x16x32_fp8_fp8 v[164:167], a[66:67], v[210:211], v[164:167]// 000000007FF4: D3F300A4 0E93A542
	v_mfma_f32_16x16x32_fp8_fp8 v[164:167], a[68:69], v[212:213], v[164:167]// 000000007FFC: D3F300A4 0E93A944
	v_mfma_f32_16x16x32_fp8_fp8 v[164:167], a[70:71], v[214:215], v[164:167]// 000000008004: D3F300A4 0E93AD46
	v_mfma_f32_16x16x32_fp8_fp8 v[164:167], a[72:73], v[216:217], v[164:167]// 00000000800C: D3F300A4 0E93B148
	buffer_load_dwordx4 a[204:207], v38, s[92:95], 0 offen offset:3072// 000000008014: E05C1C00 8097CC26
	v_mfma_f32_16x16x32_fp8_fp8 v[164:167], a[74:75], v[218:219], v[164:167]// 00000000801C: D3F300A4 0E93B54A
	v_mfma_f32_16x16x32_fp8_fp8 v[164:167], a[76:77], v[220:221], v[164:167]// 000000008024: D3F300A4 0E93B94C
	v_mfma_f32_16x16x32_fp8_fp8 v[164:167], a[78:79], v[222:223], v[164:167]// 00000000802C: D3F300A4 0E93BD4E
	s_waitcnt vmcnt(36)                                        // 000000008034: BF8C8F74
	v_mfma_f32_16x16x32_fp8_fp8 v[168:171], a[80:81], v[192:193], v[168:171]// 000000008038: D3F300A8 0EA38150
	buffer_load_dwordx4 a[208:211], v39, s[92:95], 0 offen     // 000000008040: E05C1000 8097D027
	v_mfma_f32_16x16x32_fp8_fp8 v[168:171], a[82:83], v[194:195], v[168:171]// 000000008048: D3F300A8 0EA38552
	v_mfma_f32_16x16x32_fp8_fp8 v[168:171], a[84:85], v[196:197], v[168:171]// 000000008050: D3F300A8 0EA38954
	v_mfma_f32_16x16x32_fp8_fp8 v[168:171], a[86:87], v[198:199], v[168:171]// 000000008058: D3F300A8 0EA38D56
	v_mfma_f32_16x16x32_fp8_fp8 v[168:171], a[88:89], v[200:201], v[168:171]// 000000008060: D3F300A8 0EA39158
	buffer_load_dwordx4 a[212:215], v39, s[92:95], 0 offen offset:1024// 000000008068: E05C1400 8097D427
	v_mfma_f32_16x16x32_fp8_fp8 v[168:171], a[90:91], v[202:203], v[168:171]// 000000008070: D3F300A8 0EA3955A
	v_mfma_f32_16x16x32_fp8_fp8 v[168:171], a[92:93], v[204:205], v[168:171]// 000000008078: D3F300A8 0EA3995C
	v_mfma_f32_16x16x32_fp8_fp8 v[168:171], a[94:95], v[206:207], v[168:171]// 000000008080: D3F300A8 0EA39D5E
	v_mfma_f32_16x16x32_fp8_fp8 v[172:175], a[80:81], v[208:209], v[172:175]// 000000008088: D3F300AC 0EB3A150
	buffer_load_dwordx4 a[216:219], v39, s[92:95], 0 offen offset:2048// 000000008090: E05C1800 8097D827
	v_mfma_f32_16x16x32_fp8_fp8 v[172:175], a[82:83], v[210:211], v[172:175]// 000000008098: D3F300AC 0EB3A552
	v_mfma_f32_16x16x32_fp8_fp8 v[172:175], a[84:85], v[212:213], v[172:175]// 0000000080A0: D3F300AC 0EB3A954
	v_mfma_f32_16x16x32_fp8_fp8 v[172:175], a[86:87], v[214:215], v[172:175]// 0000000080A8: D3F300AC 0EB3AD56
	v_mfma_f32_16x16x32_fp8_fp8 v[172:175], a[88:89], v[216:217], v[172:175]// 0000000080B0: D3F300AC 0EB3B158
	buffer_load_dwordx4 a[220:223], v39, s[92:95], 0 offen offset:3072// 0000000080B8: E05C1C00 8097DC27
	v_mfma_f32_16x16x32_fp8_fp8 v[172:175], a[90:91], v[218:219], v[172:175]// 0000000080C0: D3F300AC 0EB3B55A
	v_mfma_f32_16x16x32_fp8_fp8 v[172:175], a[92:93], v[220:221], v[172:175]// 0000000080C8: D3F300AC 0EB3B95C
	v_mfma_f32_16x16x32_fp8_fp8 v[172:175], a[94:95], v[222:223], v[172:175]// 0000000080D0: D3F300AC 0EB3BD5E
	s_waitcnt vmcnt(36)                                        // 0000000080D8: BF8C8F74
	v_mfma_f32_16x16x32_fp8_fp8 v[176:179], a[96:97], v[192:193], v[176:179]// 0000000080DC: D3F300B0 0EC38160
	buffer_load_dwordx4 a[224:227], v40, s[92:95], 0 offen     // 0000000080E4: E05C1000 8097E028
	v_mfma_f32_16x16x32_fp8_fp8 v[176:179], a[98:99], v[194:195], v[176:179]// 0000000080EC: D3F300B0 0EC38562
	v_mfma_f32_16x16x32_fp8_fp8 v[176:179], a[100:101], v[196:197], v[176:179]// 0000000080F4: D3F300B0 0EC38964
	v_mfma_f32_16x16x32_fp8_fp8 v[176:179], a[102:103], v[198:199], v[176:179]// 0000000080FC: D3F300B0 0EC38D66
	v_mfma_f32_16x16x32_fp8_fp8 v[176:179], a[104:105], v[200:201], v[176:179]// 000000008104: D3F300B0 0EC39168
	buffer_load_dwordx4 a[228:231], v40, s[92:95], 0 offen offset:1024// 00000000810C: E05C1400 8097E428
	v_mfma_f32_16x16x32_fp8_fp8 v[176:179], a[106:107], v[202:203], v[176:179]// 000000008114: D3F300B0 0EC3956A
	v_mfma_f32_16x16x32_fp8_fp8 v[176:179], a[108:109], v[204:205], v[176:179]// 00000000811C: D3F300B0 0EC3996C
	v_mfma_f32_16x16x32_fp8_fp8 v[176:179], a[110:111], v[206:207], v[176:179]// 000000008124: D3F300B0 0EC39D6E
	v_mfma_f32_16x16x32_fp8_fp8 v[180:183], a[96:97], v[208:209], v[180:183]// 00000000812C: D3F300B4 0ED3A160
	buffer_load_dwordx4 a[232:235], v40, s[92:95], 0 offen offset:2048// 000000008134: E05C1800 8097E828
	v_mfma_f32_16x16x32_fp8_fp8 v[180:183], a[98:99], v[210:211], v[180:183]// 00000000813C: D3F300B4 0ED3A562
	v_mfma_f32_16x16x32_fp8_fp8 v[180:183], a[100:101], v[212:213], v[180:183]// 000000008144: D3F300B4 0ED3A964
	v_mfma_f32_16x16x32_fp8_fp8 v[180:183], a[102:103], v[214:215], v[180:183]// 00000000814C: D3F300B4 0ED3AD66
	v_mfma_f32_16x16x32_fp8_fp8 v[180:183], a[104:105], v[216:217], v[180:183]// 000000008154: D3F300B4 0ED3B168
	buffer_load_dwordx4 a[236:239], v40, s[92:95], 0 offen offset:3072// 00000000815C: E05C1C00 8097EC28
	v_mfma_f32_16x16x32_fp8_fp8 v[180:183], a[106:107], v[218:219], v[180:183]// 000000008164: D3F300B4 0ED3B56A
	v_mfma_f32_16x16x32_fp8_fp8 v[180:183], a[108:109], v[220:221], v[180:183]// 00000000816C: D3F300B4 0ED3B96C
	v_mfma_f32_16x16x32_fp8_fp8 v[180:183], a[110:111], v[222:223], v[180:183]// 000000008174: D3F300B4 0ED3BD6E
	s_waitcnt vmcnt(36)                                        // 00000000817C: BF8C8F74
	v_mfma_f32_16x16x32_fp8_fp8 v[184:187], a[112:113], v[192:193], v[184:187]// 000000008180: D3F300B8 0EE38170
	buffer_load_dwordx4 a[240:243], v41, s[92:95], 0 offen     // 000000008188: E05C1000 8097F029
	v_mfma_f32_16x16x32_fp8_fp8 v[184:187], a[114:115], v[194:195], v[184:187]// 000000008190: D3F300B8 0EE38572
	v_mfma_f32_16x16x32_fp8_fp8 v[184:187], a[116:117], v[196:197], v[184:187]// 000000008198: D3F300B8 0EE38974
	v_mfma_f32_16x16x32_fp8_fp8 v[184:187], a[118:119], v[198:199], v[184:187]// 0000000081A0: D3F300B8 0EE38D76
	v_mfma_f32_16x16x32_fp8_fp8 v[184:187], a[120:121], v[200:201], v[184:187]// 0000000081A8: D3F300B8 0EE39178
	buffer_load_dwordx4 a[244:247], v41, s[92:95], 0 offen offset:1024// 0000000081B0: E05C1400 8097F429
	v_mfma_f32_16x16x32_fp8_fp8 v[184:187], a[122:123], v[202:203], v[184:187]// 0000000081B8: D3F300B8 0EE3957A
	v_mfma_f32_16x16x32_fp8_fp8 v[184:187], a[124:125], v[204:205], v[184:187]// 0000000081C0: D3F300B8 0EE3997C
	v_mfma_f32_16x16x32_fp8_fp8 v[184:187], a[126:127], v[206:207], v[184:187]// 0000000081C8: D3F300B8 0EE39D7E
	v_mfma_f32_16x16x32_fp8_fp8 v[188:191], a[112:113], v[208:209], v[188:191]// 0000000081D0: D3F300BC 0EF3A170
	buffer_load_dwordx4 a[248:251], v41, s[92:95], 0 offen offset:2048// 0000000081D8: E05C1800 8097F829
	v_mfma_f32_16x16x32_fp8_fp8 v[188:191], a[114:115], v[210:211], v[188:191]// 0000000081E0: D3F300BC 0EF3A572
	v_mfma_f32_16x16x32_fp8_fp8 v[188:191], a[116:117], v[212:213], v[188:191]// 0000000081E8: D3F300BC 0EF3A974
	v_mfma_f32_16x16x32_fp8_fp8 v[188:191], a[118:119], v[214:215], v[188:191]// 0000000081F0: D3F300BC 0EF3AD76
	v_mfma_f32_16x16x32_fp8_fp8 v[188:191], a[120:121], v[216:217], v[188:191]// 0000000081F8: D3F300BC 0EF3B178
	buffer_load_dwordx4 a[252:255], v41, s[92:95], 0 offen offset:3072// 000000008200: E05C1C00 8097FC29
	v_mfma_f32_16x16x32_fp8_fp8 v[188:191], a[122:123], v[218:219], v[188:191]// 000000008208: D3F300BC 0EF3B57A
	v_mfma_f32_16x16x32_fp8_fp8 v[188:191], a[124:125], v[220:221], v[188:191]// 000000008210: D3F300BC 0EF3B97C
	v_mfma_f32_16x16x32_fp8_fp8 v[188:191], a[126:127], v[222:223], v[188:191]// 000000008218: D3F300BC 0EF3BD7E
	s_waitcnt vmcnt(24)                                        // 000000008220: BF8C4F78
	s_barrier                                                  // 000000008224: BF8A0000
	v_mfma_f32_16x16x32_fp8_fp8 v[64:67], a[128:129], v[192:193], v[64:67]// 000000008228: D3F30040 0D038180
	buffer_load_dwordx4 a[0:3], v34, s[24:27], 0 offen         // 000000008230: E05C1000 80860022
	v_mfma_f32_16x16x32_fp8_fp8 v[64:67], a[130:131], v[194:195], v[64:67]// 000000008238: D3F30040 0D038582
	v_mfma_f32_16x16x32_fp8_fp8 v[64:67], a[132:133], v[196:197], v[64:67]// 000000008240: D3F30040 0D038984
	v_mfma_f32_16x16x32_fp8_fp8 v[64:67], a[134:135], v[198:199], v[64:67]// 000000008248: D3F30040 0D038D86
	v_mfma_f32_16x16x32_fp8_fp8 v[64:67], a[136:137], v[200:201], v[64:67]// 000000008250: D3F30040 0D039188
	buffer_load_dwordx4 a[4:7], v34, s[24:27], 0 offen offset:1024// 000000008258: E05C1400 80860422
	v_mfma_f32_16x16x32_fp8_fp8 v[64:67], a[138:139], v[202:203], v[64:67]// 000000008260: D3F30040 0D03958A
	v_mfma_f32_16x16x32_fp8_fp8 v[64:67], a[140:141], v[204:205], v[64:67]// 000000008268: D3F30040 0D03998C
	v_mfma_f32_16x16x32_fp8_fp8 v[64:67], a[142:143], v[206:207], v[64:67]// 000000008270: D3F30040 0D039D8E
	v_mfma_f32_16x16x32_fp8_fp8 v[68:71], a[128:129], v[208:209], v[68:71]// 000000008278: D3F30044 0D13A180
	buffer_load_dwordx4 a[8:11], v34, s[24:27], 0 offen offset:2048// 000000008280: E05C1800 80860822
	v_mfma_f32_16x16x32_fp8_fp8 v[68:71], a[130:131], v[210:211], v[68:71]// 000000008288: D3F30044 0D13A582
	v_mfma_f32_16x16x32_fp8_fp8 v[68:71], a[132:133], v[212:213], v[68:71]// 000000008290: D3F30044 0D13A984
	v_mfma_f32_16x16x32_fp8_fp8 v[68:71], a[134:135], v[214:215], v[68:71]// 000000008298: D3F30044 0D13AD86
	v_mfma_f32_16x16x32_fp8_fp8 v[68:71], a[136:137], v[216:217], v[68:71]// 0000000082A0: D3F30044 0D13B188
	buffer_load_dwordx4 a[12:15], v34, s[24:27], 0 offen offset:3072// 0000000082A8: E05C1C00 80860C22
	v_mfma_f32_16x16x32_fp8_fp8 v[68:71], a[138:139], v[218:219], v[68:71]// 0000000082B0: D3F30044 0D13B58A
	v_mfma_f32_16x16x32_fp8_fp8 v[68:71], a[140:141], v[220:221], v[68:71]// 0000000082B8: D3F30044 0D13B98C
	v_mfma_f32_16x16x32_fp8_fp8 v[68:71], a[142:143], v[222:223], v[68:71]// 0000000082C0: D3F30044 0D13BD8E
	v_mfma_f32_16x16x32_fp8_fp8 v[72:75], a[144:145], v[192:193], v[72:75]// 0000000082C8: D3F30048 0D238190
	buffer_load_dwordx4 a[16:19], v35, s[24:27], 0 offen       // 0000000082D0: E05C1000 80861023
	v_mfma_f32_16x16x32_fp8_fp8 v[72:75], a[146:147], v[194:195], v[72:75]// 0000000082D8: D3F30048 0D238592
	v_mfma_f32_16x16x32_fp8_fp8 v[72:75], a[148:149], v[196:197], v[72:75]// 0000000082E0: D3F30048 0D238994
	v_mfma_f32_16x16x32_fp8_fp8 v[72:75], a[150:151], v[198:199], v[72:75]// 0000000082E8: D3F30048 0D238D96
	v_mfma_f32_16x16x32_fp8_fp8 v[72:75], a[152:153], v[200:201], v[72:75]// 0000000082F0: D3F30048 0D239198
	buffer_load_dwordx4 a[20:23], v35, s[24:27], 0 offen offset:1024// 0000000082F8: E05C1400 80861423
	v_mfma_f32_16x16x32_fp8_fp8 v[72:75], a[154:155], v[202:203], v[72:75]// 000000008300: D3F30048 0D23959A
	v_mfma_f32_16x16x32_fp8_fp8 v[72:75], a[156:157], v[204:205], v[72:75]// 000000008308: D3F30048 0D23999C
	v_mfma_f32_16x16x32_fp8_fp8 v[72:75], a[158:159], v[206:207], v[72:75]// 000000008310: D3F30048 0D239D9E
	v_mfma_f32_16x16x32_fp8_fp8 v[76:79], a[144:145], v[208:209], v[76:79]// 000000008318: D3F3004C 0D33A190
	buffer_load_dwordx4 a[24:27], v35, s[24:27], 0 offen offset:2048// 000000008320: E05C1800 80861823
	v_mfma_f32_16x16x32_fp8_fp8 v[76:79], a[146:147], v[210:211], v[76:79]// 000000008328: D3F3004C 0D33A592
	v_mfma_f32_16x16x32_fp8_fp8 v[76:79], a[148:149], v[212:213], v[76:79]// 000000008330: D3F3004C 0D33A994
	v_mfma_f32_16x16x32_fp8_fp8 v[76:79], a[150:151], v[214:215], v[76:79]// 000000008338: D3F3004C 0D33AD96
	v_mfma_f32_16x16x32_fp8_fp8 v[76:79], a[152:153], v[216:217], v[76:79]// 000000008340: D3F3004C 0D33B198
	buffer_load_dwordx4 a[28:31], v35, s[24:27], 0 offen offset:3072// 000000008348: E05C1C00 80861C23
	v_mfma_f32_16x16x32_fp8_fp8 v[76:79], a[154:155], v[218:219], v[76:79]// 000000008350: D3F3004C 0D33B59A
	v_mfma_f32_16x16x32_fp8_fp8 v[76:79], a[156:157], v[220:221], v[76:79]// 000000008358: D3F3004C 0D33B99C
	v_mfma_f32_16x16x32_fp8_fp8 v[76:79], a[158:159], v[222:223], v[76:79]// 000000008360: D3F3004C 0D33BD9E
	s_waitcnt vmcnt(28)                                        // 000000008368: BF8C4F7C
	v_mfma_f32_16x16x32_fp8_fp8 v[80:83], a[160:161], v[192:193], v[80:83]// 00000000836C: D3F30050 0D4381A0
	buffer_load_dwordx4 a[32:35], v36, s[24:27], 0 offen       // 000000008374: E05C1000 80862024
	v_mfma_f32_16x16x32_fp8_fp8 v[80:83], a[162:163], v[194:195], v[80:83]// 00000000837C: D3F30050 0D4385A2
	v_mfma_f32_16x16x32_fp8_fp8 v[80:83], a[164:165], v[196:197], v[80:83]// 000000008384: D3F30050 0D4389A4
	ds_read_b128 v[224:227], v2 offset:8320                    // 00000000838C: D9FE2080 E0000002
	v_mfma_f32_16x16x32_fp8_fp8 v[80:83], a[166:167], v[198:199], v[80:83]// 000000008394: D3F30050 0D438DA6
	v_mfma_f32_16x16x32_fp8_fp8 v[80:83], a[168:169], v[200:201], v[80:83]// 00000000839C: D3F30050 0D4391A8
	buffer_load_dwordx4 a[36:39], v36, s[24:27], 0 offen offset:1024// 0000000083A4: E05C1400 80862424
	v_mfma_f32_16x16x32_fp8_fp8 v[80:83], a[170:171], v[202:203], v[80:83]// 0000000083AC: D3F30050 0D4395AA
	v_mfma_f32_16x16x32_fp8_fp8 v[80:83], a[172:173], v[204:205], v[80:83]// 0000000083B4: D3F30050 0D4399AC
	ds_read_b128 v[228:231], v2 offset:8384                    // 0000000083BC: D9FE20C0 E4000002
	v_mfma_f32_16x16x32_fp8_fp8 v[80:83], a[174:175], v[206:207], v[80:83]// 0000000083C4: D3F30050 0D439DAE
	v_mfma_f32_16x16x32_fp8_fp8 v[84:87], a[160:161], v[208:209], v[84:87]// 0000000083CC: D3F30054 0D53A1A0
	buffer_load_dwordx4 a[40:43], v36, s[24:27], 0 offen offset:2048// 0000000083D4: E05C1800 80862824
	v_mfma_f32_16x16x32_fp8_fp8 v[84:87], a[162:163], v[210:211], v[84:87]// 0000000083DC: D3F30054 0D53A5A2
	v_mfma_f32_16x16x32_fp8_fp8 v[84:87], a[164:165], v[212:213], v[84:87]// 0000000083E4: D3F30054 0D53A9A4
	ds_read_b128 v[232:235], v2 offset:8448                    // 0000000083EC: D9FE2100 E8000002
	v_mfma_f32_16x16x32_fp8_fp8 v[84:87], a[166:167], v[214:215], v[84:87]// 0000000083F4: D3F30054 0D53ADA6
	v_mfma_f32_16x16x32_fp8_fp8 v[84:87], a[168:169], v[216:217], v[84:87]// 0000000083FC: D3F30054 0D53B1A8
	buffer_load_dwordx4 a[44:47], v36, s[24:27], 0 offen offset:3072// 000000008404: E05C1C00 80862C24
	v_mfma_f32_16x16x32_fp8_fp8 v[84:87], a[170:171], v[218:219], v[84:87]// 00000000840C: D3F30054 0D53B5AA
	v_mfma_f32_16x16x32_fp8_fp8 v[84:87], a[172:173], v[220:221], v[84:87]// 000000008414: D3F30054 0D53B9AC
	ds_read_b128 v[236:239], v2 offset:8512                    // 00000000841C: D9FE2140 EC000002
	v_mfma_f32_16x16x32_fp8_fp8 v[84:87], a[174:175], v[222:223], v[84:87]// 000000008424: D3F30054 0D53BDAE
	s_waitcnt vmcnt(28)                                        // 00000000842C: BF8C4F7C
	v_mfma_f32_16x16x32_fp8_fp8 v[88:91], a[176:177], v[192:193], v[88:91]// 000000008430: D3F30058 0D6381B0
	buffer_load_dwordx4 a[48:51], v37, s[24:27], 0 offen       // 000000008438: E05C1000 80863025
	v_mfma_f32_16x16x32_fp8_fp8 v[88:91], a[178:179], v[194:195], v[88:91]// 000000008440: D3F30058 0D6385B2
	v_mfma_f32_16x16x32_fp8_fp8 v[88:91], a[180:181], v[196:197], v[88:91]// 000000008448: D3F30058 0D6389B4
	ds_read_b128 v[240:243], v2 offset:9344                    // 000000008450: D9FE2480 F0000002
	v_mfma_f32_16x16x32_fp8_fp8 v[88:91], a[182:183], v[198:199], v[88:91]// 000000008458: D3F30058 0D638DB6
	v_mfma_f32_16x16x32_fp8_fp8 v[88:91], a[184:185], v[200:201], v[88:91]// 000000008460: D3F30058 0D6391B8
	buffer_load_dwordx4 a[52:55], v37, s[24:27], 0 offen offset:1024// 000000008468: E05C1400 80863425
	v_mfma_f32_16x16x32_fp8_fp8 v[88:91], a[186:187], v[202:203], v[88:91]// 000000008470: D3F30058 0D6395BA
	v_mfma_f32_16x16x32_fp8_fp8 v[88:91], a[188:189], v[204:205], v[88:91]// 000000008478: D3F30058 0D6399BC
	ds_read_b128 v[244:247], v2 offset:9408                    // 000000008480: D9FE24C0 F4000002
	v_mfma_f32_16x16x32_fp8_fp8 v[88:91], a[190:191], v[206:207], v[88:91]// 000000008488: D3F30058 0D639DBE
	v_mfma_f32_16x16x32_fp8_fp8 v[92:95], a[176:177], v[208:209], v[92:95]// 000000008490: D3F3005C 0D73A1B0
	buffer_load_dwordx4 a[56:59], v37, s[24:27], 0 offen offset:2048// 000000008498: E05C1800 80863825
	v_mfma_f32_16x16x32_fp8_fp8 v[92:95], a[178:179], v[210:211], v[92:95]// 0000000084A0: D3F3005C 0D73A5B2
	v_mfma_f32_16x16x32_fp8_fp8 v[92:95], a[180:181], v[212:213], v[92:95]// 0000000084A8: D3F3005C 0D73A9B4
	ds_read_b128 v[248:251], v2 offset:9472                    // 0000000084B0: D9FE2500 F8000002
	v_mfma_f32_16x16x32_fp8_fp8 v[92:95], a[182:183], v[214:215], v[92:95]// 0000000084B8: D3F3005C 0D73ADB6
	v_mfma_f32_16x16x32_fp8_fp8 v[92:95], a[184:185], v[216:217], v[92:95]// 0000000084C0: D3F3005C 0D73B1B8
	buffer_load_dwordx4 a[60:63], v37, s[24:27], 0 offen offset:3072// 0000000084C8: E05C1C00 80863C25
	v_mfma_f32_16x16x32_fp8_fp8 v[92:95], a[186:187], v[218:219], v[92:95]// 0000000084D0: D3F3005C 0D73B5BA
	v_mfma_f32_16x16x32_fp8_fp8 v[92:95], a[188:189], v[220:221], v[92:95]// 0000000084D8: D3F3005C 0D73B9BC
	ds_read_b128 v[252:255], v2 offset:9536                    // 0000000084E0: D9FE2540 FC000002
	v_mfma_f32_16x16x32_fp8_fp8 v[92:95], a[190:191], v[222:223], v[92:95]// 0000000084E8: D3F3005C 0D73BDBE
	s_waitcnt vmcnt(28)                                        // 0000000084F0: BF8C4F7C
	v_mfma_f32_16x16x32_fp8_fp8 v[96:99], a[192:193], v[192:193], v[96:99]// 0000000084F4: D3F30060 0D8381C0
	buffer_load_dwordx4 a[64:67], v38, s[24:27], 0 offen       // 0000000084FC: E05C1000 80864026
	v_mfma_f32_16x16x32_fp8_fp8 v[96:99], a[194:195], v[194:195], v[96:99]// 000000008504: D3F30060 0D8385C2
	v_mfma_f32_16x16x32_fp8_fp8 v[96:99], a[196:197], v[196:197], v[96:99]// 00000000850C: D3F30060 0D8389C4
	v_mfma_f32_16x16x32_fp8_fp8 v[96:99], a[198:199], v[198:199], v[96:99]// 000000008514: D3F30060 0D838DC6
	v_mfma_f32_16x16x32_fp8_fp8 v[96:99], a[200:201], v[200:201], v[96:99]// 00000000851C: D3F30060 0D8391C8
	buffer_load_dwordx4 a[68:71], v38, s[24:27], 0 offen offset:1024// 000000008524: E05C1400 80864426
	v_mfma_f32_16x16x32_fp8_fp8 v[96:99], a[202:203], v[202:203], v[96:99]// 00000000852C: D3F30060 0D8395CA
	v_mfma_f32_16x16x32_fp8_fp8 v[96:99], a[204:205], v[204:205], v[96:99]// 000000008534: D3F30060 0D8399CC
	v_mfma_f32_16x16x32_fp8_fp8 v[96:99], a[206:207], v[206:207], v[96:99]// 00000000853C: D3F30060 0D839DCE
	v_mfma_f32_16x16x32_fp8_fp8 v[100:103], a[192:193], v[208:209], v[100:103]// 000000008544: D3F30064 0D93A1C0
	buffer_load_dwordx4 a[72:75], v38, s[24:27], 0 offen offset:2048// 00000000854C: E05C1800 80864826
	v_mfma_f32_16x16x32_fp8_fp8 v[100:103], a[194:195], v[210:211], v[100:103]// 000000008554: D3F30064 0D93A5C2
	v_mfma_f32_16x16x32_fp8_fp8 v[100:103], a[196:197], v[212:213], v[100:103]// 00000000855C: D3F30064 0D93A9C4
	v_mfma_f32_16x16x32_fp8_fp8 v[100:103], a[198:199], v[214:215], v[100:103]// 000000008564: D3F30064 0D93ADC6
	v_mfma_f32_16x16x32_fp8_fp8 v[100:103], a[200:201], v[216:217], v[100:103]// 00000000856C: D3F30064 0D93B1C8
	buffer_load_dwordx4 a[76:79], v38, s[24:27], 0 offen offset:3072// 000000008574: E05C1C00 80864C26
	v_mfma_f32_16x16x32_fp8_fp8 v[100:103], a[202:203], v[218:219], v[100:103]// 00000000857C: D3F30064 0D93B5CA
	v_mfma_f32_16x16x32_fp8_fp8 v[100:103], a[204:205], v[220:221], v[100:103]// 000000008584: D3F30064 0D93B9CC
	v_mfma_f32_16x16x32_fp8_fp8 v[100:103], a[206:207], v[222:223], v[100:103]// 00000000858C: D3F30064 0D93BDCE
	s_waitcnt vmcnt(28)                                        // 000000008594: BF8C4F7C
	v_mfma_f32_16x16x32_fp8_fp8 v[104:107], a[208:209], v[192:193], v[104:107]// 000000008598: D3F30068 0DA381D0
	buffer_load_dwordx4 a[80:83], v39, s[24:27], 0 offen       // 0000000085A0: E05C1000 80865027
	v_mfma_f32_16x16x32_fp8_fp8 v[104:107], a[210:211], v[194:195], v[104:107]// 0000000085A8: D3F30068 0DA385D2
	v_mfma_f32_16x16x32_fp8_fp8 v[104:107], a[212:213], v[196:197], v[104:107]// 0000000085B0: D3F30068 0DA389D4
	v_mfma_f32_16x16x32_fp8_fp8 v[104:107], a[214:215], v[198:199], v[104:107]// 0000000085B8: D3F30068 0DA38DD6
	v_mfma_f32_16x16x32_fp8_fp8 v[104:107], a[216:217], v[200:201], v[104:107]// 0000000085C0: D3F30068 0DA391D8
	buffer_load_dwordx4 a[84:87], v39, s[24:27], 0 offen offset:1024// 0000000085C8: E05C1400 80865427
	v_mfma_f32_16x16x32_fp8_fp8 v[104:107], a[218:219], v[202:203], v[104:107]// 0000000085D0: D3F30068 0DA395DA
	v_mfma_f32_16x16x32_fp8_fp8 v[104:107], a[220:221], v[204:205], v[104:107]// 0000000085D8: D3F30068 0DA399DC
	v_mfma_f32_16x16x32_fp8_fp8 v[104:107], a[222:223], v[206:207], v[104:107]// 0000000085E0: D3F30068 0DA39DDE
	v_mfma_f32_16x16x32_fp8_fp8 v[108:111], a[208:209], v[208:209], v[108:111]// 0000000085E8: D3F3006C 0DB3A1D0
	buffer_load_dwordx4 a[88:91], v39, s[24:27], 0 offen offset:2048// 0000000085F0: E05C1800 80865827
	v_mfma_f32_16x16x32_fp8_fp8 v[108:111], a[210:211], v[210:211], v[108:111]// 0000000085F8: D3F3006C 0DB3A5D2
	v_mfma_f32_16x16x32_fp8_fp8 v[108:111], a[212:213], v[212:213], v[108:111]// 000000008600: D3F3006C 0DB3A9D4
	v_mfma_f32_16x16x32_fp8_fp8 v[108:111], a[214:215], v[214:215], v[108:111]// 000000008608: D3F3006C 0DB3ADD6
	v_mfma_f32_16x16x32_fp8_fp8 v[108:111], a[216:217], v[216:217], v[108:111]// 000000008610: D3F3006C 0DB3B1D8
	buffer_load_dwordx4 a[92:95], v39, s[24:27], 0 offen offset:3072// 000000008618: E05C1C00 80865C27
	v_mfma_f32_16x16x32_fp8_fp8 v[108:111], a[218:219], v[218:219], v[108:111]// 000000008620: D3F3006C 0DB3B5DA
	v_mfma_f32_16x16x32_fp8_fp8 v[108:111], a[220:221], v[220:221], v[108:111]// 000000008628: D3F3006C 0DB3B9DC
	v_mfma_f32_16x16x32_fp8_fp8 v[108:111], a[222:223], v[222:223], v[108:111]// 000000008630: D3F3006C 0DB3BDDE
	s_waitcnt vmcnt(28)                                        // 000000008638: BF8C4F7C
	v_mfma_f32_16x16x32_fp8_fp8 v[112:115], a[224:225], v[192:193], v[112:115]// 00000000863C: D3F30070 0DC381E0
	buffer_load_dwordx4 a[96:99], v40, s[24:27], 0 offen       // 000000008644: E05C1000 80866028
	v_mfma_f32_16x16x32_fp8_fp8 v[112:115], a[226:227], v[194:195], v[112:115]// 00000000864C: D3F30070 0DC385E2
	v_mfma_f32_16x16x32_fp8_fp8 v[112:115], a[228:229], v[196:197], v[112:115]// 000000008654: D3F30070 0DC389E4
	v_mfma_f32_16x16x32_fp8_fp8 v[112:115], a[230:231], v[198:199], v[112:115]// 00000000865C: D3F30070 0DC38DE6
	v_mfma_f32_16x16x32_fp8_fp8 v[112:115], a[232:233], v[200:201], v[112:115]// 000000008664: D3F30070 0DC391E8
	buffer_load_dwordx4 a[100:103], v40, s[24:27], 0 offen offset:1024// 00000000866C: E05C1400 80866428
	v_mfma_f32_16x16x32_fp8_fp8 v[112:115], a[234:235], v[202:203], v[112:115]// 000000008674: D3F30070 0DC395EA
	v_mfma_f32_16x16x32_fp8_fp8 v[112:115], a[236:237], v[204:205], v[112:115]// 00000000867C: D3F30070 0DC399EC
	v_mfma_f32_16x16x32_fp8_fp8 v[112:115], a[238:239], v[206:207], v[112:115]// 000000008684: D3F30070 0DC39DEE
	v_mfma_f32_16x16x32_fp8_fp8 v[116:119], a[224:225], v[208:209], v[116:119]// 00000000868C: D3F30074 0DD3A1E0
	buffer_load_dwordx4 a[104:107], v40, s[24:27], 0 offen offset:2048// 000000008694: E05C1800 80866828
	v_mfma_f32_16x16x32_fp8_fp8 v[116:119], a[226:227], v[210:211], v[116:119]// 00000000869C: D3F30074 0DD3A5E2
	v_mfma_f32_16x16x32_fp8_fp8 v[116:119], a[228:229], v[212:213], v[116:119]// 0000000086A4: D3F30074 0DD3A9E4
	v_mfma_f32_16x16x32_fp8_fp8 v[116:119], a[230:231], v[214:215], v[116:119]// 0000000086AC: D3F30074 0DD3ADE6
	v_mfma_f32_16x16x32_fp8_fp8 v[116:119], a[232:233], v[216:217], v[116:119]// 0000000086B4: D3F30074 0DD3B1E8
	buffer_load_dwordx4 a[108:111], v40, s[24:27], 0 offen offset:3072// 0000000086BC: E05C1C00 80866C28
	v_mfma_f32_16x16x32_fp8_fp8 v[116:119], a[234:235], v[218:219], v[116:119]// 0000000086C4: D3F30074 0DD3B5EA
	v_mfma_f32_16x16x32_fp8_fp8 v[116:119], a[236:237], v[220:221], v[116:119]// 0000000086CC: D3F30074 0DD3B9EC
	v_mfma_f32_16x16x32_fp8_fp8 v[116:119], a[238:239], v[222:223], v[116:119]// 0000000086D4: D3F30074 0DD3BDEE
	s_waitcnt vmcnt(28)                                        // 0000000086DC: BF8C4F7C
	v_mfma_f32_16x16x32_fp8_fp8 v[120:123], a[240:241], v[192:193], v[120:123]// 0000000086E0: D3F30078 0DE381F0
	buffer_load_dwordx4 a[112:115], v41, s[24:27], 0 offen     // 0000000086E8: E05C1000 80867029
	v_mfma_f32_16x16x32_fp8_fp8 v[120:123], a[242:243], v[194:195], v[120:123]// 0000000086F0: D3F30078 0DE385F2
	v_mfma_f32_16x16x32_fp8_fp8 v[120:123], a[244:245], v[196:197], v[120:123]// 0000000086F8: D3F30078 0DE389F4
	v_mfma_f32_16x16x32_fp8_fp8 v[120:123], a[246:247], v[198:199], v[120:123]// 000000008700: D3F30078 0DE38DF6
	v_mfma_f32_16x16x32_fp8_fp8 v[120:123], a[248:249], v[200:201], v[120:123]// 000000008708: D3F30078 0DE391F8
	buffer_load_dwordx4 a[116:119], v41, s[24:27], 0 offen offset:1024// 000000008710: E05C1400 80867429
	v_mfma_f32_16x16x32_fp8_fp8 v[120:123], a[250:251], v[202:203], v[120:123]// 000000008718: D3F30078 0DE395FA
	v_mfma_f32_16x16x32_fp8_fp8 v[120:123], a[252:253], v[204:205], v[120:123]// 000000008720: D3F30078 0DE399FC
	v_mfma_f32_16x16x32_fp8_fp8 v[120:123], a[254:255], v[206:207], v[120:123]// 000000008728: D3F30078 0DE39DFE
	v_mfma_f32_16x16x32_fp8_fp8 v[124:127], a[240:241], v[208:209], v[124:127]// 000000008730: D3F3007C 0DF3A1F0
	buffer_load_dwordx4 a[120:123], v41, s[24:27], 0 offen offset:2048// 000000008738: E05C1800 80867829
	v_mfma_f32_16x16x32_fp8_fp8 v[124:127], a[242:243], v[210:211], v[124:127]// 000000008740: D3F3007C 0DF3A5F2
	v_mfma_f32_16x16x32_fp8_fp8 v[124:127], a[244:245], v[212:213], v[124:127]// 000000008748: D3F3007C 0DF3A9F4
	v_mfma_f32_16x16x32_fp8_fp8 v[124:127], a[246:247], v[214:215], v[124:127]// 000000008750: D3F3007C 0DF3ADF6
	v_mfma_f32_16x16x32_fp8_fp8 v[124:127], a[248:249], v[216:217], v[124:127]// 000000008758: D3F3007C 0DF3B1F8
	buffer_load_dwordx4 a[124:127], v41, s[24:27], 0 offen offset:3072// 000000008760: E05C1C00 80867C29
	v_mfma_f32_16x16x32_fp8_fp8 v[124:127], a[250:251], v[218:219], v[124:127]// 000000008768: D3F3007C 0DF3B5FA
	v_mfma_f32_16x16x32_fp8_fp8 v[124:127], a[252:253], v[220:221], v[124:127]// 000000008770: D3F3007C 0DF3B9FC
	v_mfma_f32_16x16x32_fp8_fp8 v[124:127], a[254:255], v[222:223], v[124:127]// 000000008778: D3F3007C 0DF3BDFE
	s_add_u32 s60, 0x200, s80                                  // 000000008780: 803C50FF 00000200
	s_cmp_lt_u32 s60, s81                                      // 000000008788: BF0A513C
	s_cselect_b32 s57, s57, 0                                  // 00000000878C: 85398039
	s_add_u32 s60, 0x200, s80                                  // 000000008790: 803C50FF 00000200
	s_cmp_lt_u32 s60, s81                                      // 000000008798: BF0A513C
	s_cselect_b32 s58, s58, 0                                  // 00000000879C: 853A803A
	s_add_u32 s20, s57, s20                                    // 0000000087A0: 80141439
	s_addc_u32 s21, 0, s21                                     // 0000000087A4: 82151580
	s_add_u32 s24, s58, s24                                    // 0000000087A8: 8018183A
	s_addc_u32 s25, 0, s25                                     // 0000000087AC: 82191980
	s_add_u32 s92, s90, s92                                    // 0000000087B0: 805C5C5A
	s_addc_u32 s93, 0, s93                                     // 0000000087B4: 825D5D80
	s_addk_i32 s80, 0x100                                      // 0000000087B8: B7500100
	s_cmp_lt_i32 s80, s81                                      // 0000000087BC: BF045150
	s_cbranch_scc0 label_1A02                                  // 0000000087C0: BF8402D1
	s_waitcnt vmcnt(24) lgkmcnt(0)                             // 0000000087C4: BF8C4078
	s_barrier                                                  // 0000000087C8: BF8A0000
	v_mfma_f32_16x16x32_fp8_fp8 v[128:131], a[0:1], v[224:225], v[128:131]// 0000000087CC: D3F30080 0E03C100
	buffer_load_dwordx4 a[128:131], v34, s[92:95], 0 offen     // 0000000087D4: E05C1000 80978022
	v_mfma_f32_16x16x32_fp8_fp8 v[128:131], a[2:3], v[226:227], v[128:131]// 0000000087DC: D3F30080 0E03C502
	v_mfma_f32_16x16x32_fp8_fp8 v[128:131], a[4:5], v[228:229], v[128:131]// 0000000087E4: D3F30080 0E03C904
	buffer_load_dword v26, s[20:23], 0 offen lds               // 0000000087EC: E0511000 8005001A
	s_add_u32 m0, 0x100, s50                                   // 0000000087F4: 807C32FF 00000100
	v_mfma_f32_16x16x32_fp8_fp8 v[128:131], a[6:7], v[230:231], v[128:131]// 0000000087FC: D3F30080 0E03CD06
	v_mfma_f32_16x16x32_fp8_fp8 v[128:131], a[8:9], v[232:233], v[128:131]// 000000008804: D3F30080 0E03D108
	buffer_load_dwordx4 a[132:135], v34, s[92:95], 0 offen offset:1024// 00000000880C: E05C1400 80978422
	v_mfma_f32_16x16x32_fp8_fp8 v[128:131], a[10:11], v[234:235], v[128:131]// 000000008814: D3F30080 0E03D50A
	v_mfma_f32_16x16x32_fp8_fp8 v[128:131], a[12:13], v[236:237], v[128:131]// 00000000881C: D3F30080 0E03D90C
	buffer_load_dword v27, s[20:23], 0 offen lds               // 000000008824: E0511000 8005001B
	s_add_u32 m0, 0x200, s50                                   // 00000000882C: 807C32FF 00000200
	v_mfma_f32_16x16x32_fp8_fp8 v[128:131], a[14:15], v[238:239], v[128:131]// 000000008834: D3F30080 0E03DD0E
	v_mfma_f32_16x16x32_fp8_fp8 v[132:135], a[0:1], v[240:241], v[132:135]// 00000000883C: D3F30084 0E13E100
	buffer_load_dwordx4 a[136:139], v34, s[92:95], 0 offen offset:2048// 000000008844: E05C1800 80978822
	v_mfma_f32_16x16x32_fp8_fp8 v[132:135], a[2:3], v[242:243], v[132:135]// 00000000884C: D3F30084 0E13E502
	v_mfma_f32_16x16x32_fp8_fp8 v[132:135], a[4:5], v[244:245], v[132:135]// 000000008854: D3F30084 0E13E904
	buffer_load_dword v28, s[20:23], 0 offen lds               // 00000000885C: E0511000 8005001C
	s_add_u32 m0, 0x300, s50                                   // 000000008864: 807C32FF 00000300
	v_mfma_f32_16x16x32_fp8_fp8 v[132:135], a[6:7], v[246:247], v[132:135]// 00000000886C: D3F30084 0E13ED06
	v_mfma_f32_16x16x32_fp8_fp8 v[132:135], a[8:9], v[248:249], v[132:135]// 000000008874: D3F30084 0E13F108
	buffer_load_dwordx4 a[140:143], v34, s[92:95], 0 offen offset:3072// 00000000887C: E05C1C00 80978C22
	v_mfma_f32_16x16x32_fp8_fp8 v[132:135], a[10:11], v[250:251], v[132:135]// 000000008884: D3F30084 0E13F50A
	v_mfma_f32_16x16x32_fp8_fp8 v[132:135], a[12:13], v[252:253], v[132:135]// 00000000888C: D3F30084 0E13F90C
	buffer_load_dword v29, s[20:23], 0 offen lds               // 000000008894: E0511000 8005001D
	s_add_u32 m0, 0x400, s50                                   // 00000000889C: 807C32FF 00000400
	v_mfma_f32_16x16x32_fp8_fp8 v[132:135], a[14:15], v[254:255], v[132:135]// 0000000088A4: D3F30084 0E13FD0E
	v_mfma_f32_16x16x32_fp8_fp8 v[136:139], a[16:17], v[224:225], v[136:139]// 0000000088AC: D3F30088 0E23C110
	buffer_load_dwordx4 a[144:147], v35, s[92:95], 0 offen     // 0000000088B4: E05C1000 80979023
	v_mfma_f32_16x16x32_fp8_fp8 v[136:139], a[18:19], v[226:227], v[136:139]// 0000000088BC: D3F30088 0E23C512
	v_mfma_f32_16x16x32_fp8_fp8 v[136:139], a[20:21], v[228:229], v[136:139]// 0000000088C4: D3F30088 0E23C914
	buffer_load_dword v30, s[20:23], 0 offen lds               // 0000000088CC: E0511000 8005001E
	s_add_u32 m0, 0x500, s50                                   // 0000000088D4: 807C32FF 00000500
	v_mfma_f32_16x16x32_fp8_fp8 v[136:139], a[22:23], v[230:231], v[136:139]// 0000000088DC: D3F30088 0E23CD16
	v_mfma_f32_16x16x32_fp8_fp8 v[136:139], a[24:25], v[232:233], v[136:139]// 0000000088E4: D3F30088 0E23D118
	buffer_load_dwordx4 a[148:151], v35, s[92:95], 0 offen offset:1024// 0000000088EC: E05C1400 80979423
	v_mfma_f32_16x16x32_fp8_fp8 v[136:139], a[26:27], v[234:235], v[136:139]// 0000000088F4: D3F30088 0E23D51A
	v_mfma_f32_16x16x32_fp8_fp8 v[136:139], a[28:29], v[236:237], v[136:139]// 0000000088FC: D3F30088 0E23D91C
	buffer_load_dword v31, s[20:23], 0 offen lds               // 000000008904: E0511000 8005001F
	s_add_u32 m0, 0x600, s50                                   // 00000000890C: 807C32FF 00000600
	v_mfma_f32_16x16x32_fp8_fp8 v[136:139], a[30:31], v[238:239], v[136:139]// 000000008914: D3F30088 0E23DD1E
	v_mfma_f32_16x16x32_fp8_fp8 v[140:143], a[16:17], v[240:241], v[140:143]// 00000000891C: D3F3008C 0E33E110
	buffer_load_dwordx4 a[152:155], v35, s[92:95], 0 offen offset:2048// 000000008924: E05C1800 80979823
	v_mfma_f32_16x16x32_fp8_fp8 v[140:143], a[18:19], v[242:243], v[140:143]// 00000000892C: D3F3008C 0E33E512
	v_mfma_f32_16x16x32_fp8_fp8 v[140:143], a[20:21], v[244:245], v[140:143]// 000000008934: D3F3008C 0E33E914
	buffer_load_dword v32, s[20:23], 0 offen lds               // 00000000893C: E0511000 80050020
	s_add_u32 m0, 0x700, s50                                   // 000000008944: 807C32FF 00000700
	v_mfma_f32_16x16x32_fp8_fp8 v[140:143], a[22:23], v[246:247], v[140:143]// 00000000894C: D3F3008C 0E33ED16
	v_mfma_f32_16x16x32_fp8_fp8 v[140:143], a[24:25], v[248:249], v[140:143]// 000000008954: D3F3008C 0E33F118
	buffer_load_dwordx4 a[156:159], v35, s[92:95], 0 offen offset:3072// 00000000895C: E05C1C00 80979C23
	v_mfma_f32_16x16x32_fp8_fp8 v[140:143], a[26:27], v[250:251], v[140:143]// 000000008964: D3F3008C 0E33F51A
	v_mfma_f32_16x16x32_fp8_fp8 v[140:143], a[28:29], v[252:253], v[140:143]// 00000000896C: D3F3008C 0E33F91C
	buffer_load_dword v33, s[20:23], 0 offen lds               // 000000008974: E0511000 80050021
	s_add_u32 m0, 0, s51                                       // 00000000897C: 807C3380
	v_mfma_f32_16x16x32_fp8_fp8 v[140:143], a[30:31], v[254:255], v[140:143]// 000000008980: D3F3008C 0E33FD1E
	s_waitcnt vmcnt(36)                                        // 000000008988: BF8C8F74
	v_mfma_f32_16x16x32_fp8_fp8 v[144:147], a[32:33], v[224:225], v[144:147]// 00000000898C: D3F30090 0E43C120
	buffer_load_dwordx4 a[160:163], v36, s[92:95], 0 offen     // 000000008994: E05C1000 8097A024
	v_mfma_f32_16x16x32_fp8_fp8 v[144:147], a[34:35], v[226:227], v[144:147]// 00000000899C: D3F30090 0E43C522
	v_mfma_f32_16x16x32_fp8_fp8 v[144:147], a[36:37], v[228:229], v[144:147]// 0000000089A4: D3F30090 0E43C924
	v_mfma_f32_16x16x32_fp8_fp8 v[144:147], a[38:39], v[230:231], v[144:147]// 0000000089AC: D3F30090 0E43CD26
	v_mfma_f32_16x16x32_fp8_fp8 v[144:147], a[40:41], v[232:233], v[144:147]// 0000000089B4: D3F30090 0E43D128
	buffer_load_dwordx4 a[164:167], v36, s[92:95], 0 offen offset:1024// 0000000089BC: E05C1400 8097A424
	v_mfma_f32_16x16x32_fp8_fp8 v[144:147], a[42:43], v[234:235], v[144:147]// 0000000089C4: D3F30090 0E43D52A
	v_mfma_f32_16x16x32_fp8_fp8 v[144:147], a[44:45], v[236:237], v[144:147]// 0000000089CC: D3F30090 0E43D92C
	v_mfma_f32_16x16x32_fp8_fp8 v[144:147], a[46:47], v[238:239], v[144:147]// 0000000089D4: D3F30090 0E43DD2E
	v_mfma_f32_16x16x32_fp8_fp8 v[148:151], a[32:33], v[240:241], v[148:151]// 0000000089DC: D3F30094 0E53E120
	buffer_load_dwordx4 a[168:171], v36, s[92:95], 0 offen offset:2048// 0000000089E4: E05C1800 8097A824
	v_mfma_f32_16x16x32_fp8_fp8 v[148:151], a[34:35], v[242:243], v[148:151]// 0000000089EC: D3F30094 0E53E522
	v_mfma_f32_16x16x32_fp8_fp8 v[148:151], a[36:37], v[244:245], v[148:151]// 0000000089F4: D3F30094 0E53E924
	v_mfma_f32_16x16x32_fp8_fp8 v[148:151], a[38:39], v[246:247], v[148:151]// 0000000089FC: D3F30094 0E53ED26
	v_mfma_f32_16x16x32_fp8_fp8 v[148:151], a[40:41], v[248:249], v[148:151]// 000000008A04: D3F30094 0E53F128
	buffer_load_dwordx4 a[172:175], v36, s[92:95], 0 offen offset:3072// 000000008A0C: E05C1C00 8097AC24
	v_mfma_f32_16x16x32_fp8_fp8 v[148:151], a[42:43], v[250:251], v[148:151]// 000000008A14: D3F30094 0E53F52A
	v_mfma_f32_16x16x32_fp8_fp8 v[148:151], a[44:45], v[252:253], v[148:151]// 000000008A1C: D3F30094 0E53F92C
	v_mfma_f32_16x16x32_fp8_fp8 v[148:151], a[46:47], v[254:255], v[148:151]// 000000008A24: D3F30094 0E53FD2E
	s_waitcnt vmcnt(36)                                        // 000000008A2C: BF8C8F74
	v_mfma_f32_16x16x32_fp8_fp8 v[152:155], a[48:49], v[224:225], v[152:155]// 000000008A30: D3F30098 0E63C130
	buffer_load_dwordx4 a[176:179], v37, s[92:95], 0 offen     // 000000008A38: E05C1000 8097B025
	v_mfma_f32_16x16x32_fp8_fp8 v[152:155], a[50:51], v[226:227], v[152:155]// 000000008A40: D3F30098 0E63C532
	v_mfma_f32_16x16x32_fp8_fp8 v[152:155], a[52:53], v[228:229], v[152:155]// 000000008A48: D3F30098 0E63C934
	v_mfma_f32_16x16x32_fp8_fp8 v[152:155], a[54:55], v[230:231], v[152:155]// 000000008A50: D3F30098 0E63CD36
	v_mfma_f32_16x16x32_fp8_fp8 v[152:155], a[56:57], v[232:233], v[152:155]// 000000008A58: D3F30098 0E63D138
	buffer_load_dwordx4 a[180:183], v37, s[92:95], 0 offen offset:1024// 000000008A60: E05C1400 8097B425
	v_mfma_f32_16x16x32_fp8_fp8 v[152:155], a[58:59], v[234:235], v[152:155]// 000000008A68: D3F30098 0E63D53A
	v_mfma_f32_16x16x32_fp8_fp8 v[152:155], a[60:61], v[236:237], v[152:155]// 000000008A70: D3F30098 0E63D93C
	v_mfma_f32_16x16x32_fp8_fp8 v[152:155], a[62:63], v[238:239], v[152:155]// 000000008A78: D3F30098 0E63DD3E
	v_mfma_f32_16x16x32_fp8_fp8 v[156:159], a[48:49], v[240:241], v[156:159]// 000000008A80: D3F3009C 0E73E130
	buffer_load_dwordx4 a[184:187], v37, s[92:95], 0 offen offset:2048// 000000008A88: E05C1800 8097B825
	v_mfma_f32_16x16x32_fp8_fp8 v[156:159], a[50:51], v[242:243], v[156:159]// 000000008A90: D3F3009C 0E73E532
	v_mfma_f32_16x16x32_fp8_fp8 v[156:159], a[52:53], v[244:245], v[156:159]// 000000008A98: D3F3009C 0E73E934
	v_mfma_f32_16x16x32_fp8_fp8 v[156:159], a[54:55], v[246:247], v[156:159]// 000000008AA0: D3F3009C 0E73ED36
	v_mfma_f32_16x16x32_fp8_fp8 v[156:159], a[56:57], v[248:249], v[156:159]// 000000008AA8: D3F3009C 0E73F138
	buffer_load_dwordx4 a[188:191], v37, s[92:95], 0 offen offset:3072// 000000008AB0: E05C1C00 8097BC25
	v_mfma_f32_16x16x32_fp8_fp8 v[156:159], a[58:59], v[250:251], v[156:159]// 000000008AB8: D3F3009C 0E73F53A
	v_mfma_f32_16x16x32_fp8_fp8 v[156:159], a[60:61], v[252:253], v[156:159]// 000000008AC0: D3F3009C 0E73F93C
	v_mfma_f32_16x16x32_fp8_fp8 v[156:159], a[62:63], v[254:255], v[156:159]// 000000008AC8: D3F3009C 0E73FD3E
	s_waitcnt vmcnt(36)                                        // 000000008AD0: BF8C8F74
	v_mfma_f32_16x16x32_fp8_fp8 v[160:163], a[64:65], v[224:225], v[160:163]// 000000008AD4: D3F300A0 0E83C140
	buffer_load_dwordx4 a[192:195], v38, s[92:95], 0 offen     // 000000008ADC: E05C1000 8097C026
	v_mfma_f32_16x16x32_fp8_fp8 v[160:163], a[66:67], v[226:227], v[160:163]// 000000008AE4: D3F300A0 0E83C542
	v_mfma_f32_16x16x32_fp8_fp8 v[160:163], a[68:69], v[228:229], v[160:163]// 000000008AEC: D3F300A0 0E83C944
	v_mfma_f32_16x16x32_fp8_fp8 v[160:163], a[70:71], v[230:231], v[160:163]// 000000008AF4: D3F300A0 0E83CD46
	v_mfma_f32_16x16x32_fp8_fp8 v[160:163], a[72:73], v[232:233], v[160:163]// 000000008AFC: D3F300A0 0E83D148
	buffer_load_dwordx4 a[196:199], v38, s[92:95], 0 offen offset:1024// 000000008B04: E05C1400 8097C426
	v_mfma_f32_16x16x32_fp8_fp8 v[160:163], a[74:75], v[234:235], v[160:163]// 000000008B0C: D3F300A0 0E83D54A
	v_mfma_f32_16x16x32_fp8_fp8 v[160:163], a[76:77], v[236:237], v[160:163]// 000000008B14: D3F300A0 0E83D94C
	v_mfma_f32_16x16x32_fp8_fp8 v[160:163], a[78:79], v[238:239], v[160:163]// 000000008B1C: D3F300A0 0E83DD4E
	v_mfma_f32_16x16x32_fp8_fp8 v[164:167], a[64:65], v[240:241], v[164:167]// 000000008B24: D3F300A4 0E93E140
	buffer_load_dwordx4 a[200:203], v38, s[92:95], 0 offen offset:2048// 000000008B2C: E05C1800 8097C826
	v_mfma_f32_16x16x32_fp8_fp8 v[164:167], a[66:67], v[242:243], v[164:167]// 000000008B34: D3F300A4 0E93E542
	v_mfma_f32_16x16x32_fp8_fp8 v[164:167], a[68:69], v[244:245], v[164:167]// 000000008B3C: D3F300A4 0E93E944
	v_mfma_f32_16x16x32_fp8_fp8 v[164:167], a[70:71], v[246:247], v[164:167]// 000000008B44: D3F300A4 0E93ED46
	v_mfma_f32_16x16x32_fp8_fp8 v[164:167], a[72:73], v[248:249], v[164:167]// 000000008B4C: D3F300A4 0E93F148
	buffer_load_dwordx4 a[204:207], v38, s[92:95], 0 offen offset:3072// 000000008B54: E05C1C00 8097CC26
	v_mfma_f32_16x16x32_fp8_fp8 v[164:167], a[74:75], v[250:251], v[164:167]// 000000008B5C: D3F300A4 0E93F54A
	v_mfma_f32_16x16x32_fp8_fp8 v[164:167], a[76:77], v[252:253], v[164:167]// 000000008B64: D3F300A4 0E93F94C
	v_mfma_f32_16x16x32_fp8_fp8 v[164:167], a[78:79], v[254:255], v[164:167]// 000000008B6C: D3F300A4 0E93FD4E
	s_waitcnt vmcnt(36)                                        // 000000008B74: BF8C8F74
	v_mfma_f32_16x16x32_fp8_fp8 v[168:171], a[80:81], v[224:225], v[168:171]// 000000008B78: D3F300A8 0EA3C150
	buffer_load_dwordx4 a[208:211], v39, s[92:95], 0 offen     // 000000008B80: E05C1000 8097D027
	v_mfma_f32_16x16x32_fp8_fp8 v[168:171], a[82:83], v[226:227], v[168:171]// 000000008B88: D3F300A8 0EA3C552
	v_mfma_f32_16x16x32_fp8_fp8 v[168:171], a[84:85], v[228:229], v[168:171]// 000000008B90: D3F300A8 0EA3C954
	v_mfma_f32_16x16x32_fp8_fp8 v[168:171], a[86:87], v[230:231], v[168:171]// 000000008B98: D3F300A8 0EA3CD56
	v_mfma_f32_16x16x32_fp8_fp8 v[168:171], a[88:89], v[232:233], v[168:171]// 000000008BA0: D3F300A8 0EA3D158
	buffer_load_dwordx4 a[212:215], v39, s[92:95], 0 offen offset:1024// 000000008BA8: E05C1400 8097D427
	v_mfma_f32_16x16x32_fp8_fp8 v[168:171], a[90:91], v[234:235], v[168:171]// 000000008BB0: D3F300A8 0EA3D55A
	v_mfma_f32_16x16x32_fp8_fp8 v[168:171], a[92:93], v[236:237], v[168:171]// 000000008BB8: D3F300A8 0EA3D95C
	v_mfma_f32_16x16x32_fp8_fp8 v[168:171], a[94:95], v[238:239], v[168:171]// 000000008BC0: D3F300A8 0EA3DD5E
	v_mfma_f32_16x16x32_fp8_fp8 v[172:175], a[80:81], v[240:241], v[172:175]// 000000008BC8: D3F300AC 0EB3E150
	buffer_load_dwordx4 a[216:219], v39, s[92:95], 0 offen offset:2048// 000000008BD0: E05C1800 8097D827
	v_mfma_f32_16x16x32_fp8_fp8 v[172:175], a[82:83], v[242:243], v[172:175]// 000000008BD8: D3F300AC 0EB3E552
	v_mfma_f32_16x16x32_fp8_fp8 v[172:175], a[84:85], v[244:245], v[172:175]// 000000008BE0: D3F300AC 0EB3E954
	v_mfma_f32_16x16x32_fp8_fp8 v[172:175], a[86:87], v[246:247], v[172:175]// 000000008BE8: D3F300AC 0EB3ED56
	v_mfma_f32_16x16x32_fp8_fp8 v[172:175], a[88:89], v[248:249], v[172:175]// 000000008BF0: D3F300AC 0EB3F158
	buffer_load_dwordx4 a[220:223], v39, s[92:95], 0 offen offset:3072// 000000008BF8: E05C1C00 8097DC27
	v_mfma_f32_16x16x32_fp8_fp8 v[172:175], a[90:91], v[250:251], v[172:175]// 000000008C00: D3F300AC 0EB3F55A
	v_mfma_f32_16x16x32_fp8_fp8 v[172:175], a[92:93], v[252:253], v[172:175]// 000000008C08: D3F300AC 0EB3F95C
	v_mfma_f32_16x16x32_fp8_fp8 v[172:175], a[94:95], v[254:255], v[172:175]// 000000008C10: D3F300AC 0EB3FD5E
	s_waitcnt vmcnt(36)                                        // 000000008C18: BF8C8F74
	v_mfma_f32_16x16x32_fp8_fp8 v[176:179], a[96:97], v[224:225], v[176:179]// 000000008C1C: D3F300B0 0EC3C160
	buffer_load_dwordx4 a[224:227], v40, s[92:95], 0 offen     // 000000008C24: E05C1000 8097E028
	v_mfma_f32_16x16x32_fp8_fp8 v[176:179], a[98:99], v[226:227], v[176:179]// 000000008C2C: D3F300B0 0EC3C562
	v_mfma_f32_16x16x32_fp8_fp8 v[176:179], a[100:101], v[228:229], v[176:179]// 000000008C34: D3F300B0 0EC3C964
	v_mfma_f32_16x16x32_fp8_fp8 v[176:179], a[102:103], v[230:231], v[176:179]// 000000008C3C: D3F300B0 0EC3CD66
	v_mfma_f32_16x16x32_fp8_fp8 v[176:179], a[104:105], v[232:233], v[176:179]// 000000008C44: D3F300B0 0EC3D168
	buffer_load_dwordx4 a[228:231], v40, s[92:95], 0 offen offset:1024// 000000008C4C: E05C1400 8097E428
	v_mfma_f32_16x16x32_fp8_fp8 v[176:179], a[106:107], v[234:235], v[176:179]// 000000008C54: D3F300B0 0EC3D56A
	v_mfma_f32_16x16x32_fp8_fp8 v[176:179], a[108:109], v[236:237], v[176:179]// 000000008C5C: D3F300B0 0EC3D96C
	v_mfma_f32_16x16x32_fp8_fp8 v[176:179], a[110:111], v[238:239], v[176:179]// 000000008C64: D3F300B0 0EC3DD6E
	v_mfma_f32_16x16x32_fp8_fp8 v[180:183], a[96:97], v[240:241], v[180:183]// 000000008C6C: D3F300B4 0ED3E160
	buffer_load_dwordx4 a[232:235], v40, s[92:95], 0 offen offset:2048// 000000008C74: E05C1800 8097E828
	v_mfma_f32_16x16x32_fp8_fp8 v[180:183], a[98:99], v[242:243], v[180:183]// 000000008C7C: D3F300B4 0ED3E562
	v_mfma_f32_16x16x32_fp8_fp8 v[180:183], a[100:101], v[244:245], v[180:183]// 000000008C84: D3F300B4 0ED3E964
	v_mfma_f32_16x16x32_fp8_fp8 v[180:183], a[102:103], v[246:247], v[180:183]// 000000008C8C: D3F300B4 0ED3ED66
	v_mfma_f32_16x16x32_fp8_fp8 v[180:183], a[104:105], v[248:249], v[180:183]// 000000008C94: D3F300B4 0ED3F168
	buffer_load_dwordx4 a[236:239], v40, s[92:95], 0 offen offset:3072// 000000008C9C: E05C1C00 8097EC28
	v_mfma_f32_16x16x32_fp8_fp8 v[180:183], a[106:107], v[250:251], v[180:183]// 000000008CA4: D3F300B4 0ED3F56A
	v_mfma_f32_16x16x32_fp8_fp8 v[180:183], a[108:109], v[252:253], v[180:183]// 000000008CAC: D3F300B4 0ED3F96C
	v_mfma_f32_16x16x32_fp8_fp8 v[180:183], a[110:111], v[254:255], v[180:183]// 000000008CB4: D3F300B4 0ED3FD6E
	s_waitcnt vmcnt(36)                                        // 000000008CBC: BF8C8F74
	v_mfma_f32_16x16x32_fp8_fp8 v[184:187], a[112:113], v[224:225], v[184:187]// 000000008CC0: D3F300B8 0EE3C170
	buffer_load_dwordx4 a[240:243], v41, s[92:95], 0 offen     // 000000008CC8: E05C1000 8097F029
	v_mfma_f32_16x16x32_fp8_fp8 v[184:187], a[114:115], v[226:227], v[184:187]// 000000008CD0: D3F300B8 0EE3C572
	v_mfma_f32_16x16x32_fp8_fp8 v[184:187], a[116:117], v[228:229], v[184:187]// 000000008CD8: D3F300B8 0EE3C974
	v_mfma_f32_16x16x32_fp8_fp8 v[184:187], a[118:119], v[230:231], v[184:187]// 000000008CE0: D3F300B8 0EE3CD76
	v_mfma_f32_16x16x32_fp8_fp8 v[184:187], a[120:121], v[232:233], v[184:187]// 000000008CE8: D3F300B8 0EE3D178
	buffer_load_dwordx4 a[244:247], v41, s[92:95], 0 offen offset:1024// 000000008CF0: E05C1400 8097F429
	v_mfma_f32_16x16x32_fp8_fp8 v[184:187], a[122:123], v[234:235], v[184:187]// 000000008CF8: D3F300B8 0EE3D57A
	v_mfma_f32_16x16x32_fp8_fp8 v[184:187], a[124:125], v[236:237], v[184:187]// 000000008D00: D3F300B8 0EE3D97C
	v_mfma_f32_16x16x32_fp8_fp8 v[184:187], a[126:127], v[238:239], v[184:187]// 000000008D08: D3F300B8 0EE3DD7E
	v_mfma_f32_16x16x32_fp8_fp8 v[188:191], a[112:113], v[240:241], v[188:191]// 000000008D10: D3F300BC 0EF3E170
	buffer_load_dwordx4 a[248:251], v41, s[92:95], 0 offen offset:2048// 000000008D18: E05C1800 8097F829
	v_mfma_f32_16x16x32_fp8_fp8 v[188:191], a[114:115], v[242:243], v[188:191]// 000000008D20: D3F300BC 0EF3E572
	v_mfma_f32_16x16x32_fp8_fp8 v[188:191], a[116:117], v[244:245], v[188:191]// 000000008D28: D3F300BC 0EF3E974
	v_mfma_f32_16x16x32_fp8_fp8 v[188:191], a[118:119], v[246:247], v[188:191]// 000000008D30: D3F300BC 0EF3ED76
	v_mfma_f32_16x16x32_fp8_fp8 v[188:191], a[120:121], v[248:249], v[188:191]// 000000008D38: D3F300BC 0EF3F178
	buffer_load_dwordx4 a[252:255], v41, s[92:95], 0 offen offset:3072// 000000008D40: E05C1C00 8097FC29
	v_mfma_f32_16x16x32_fp8_fp8 v[188:191], a[122:123], v[250:251], v[188:191]// 000000008D48: D3F300BC 0EF3F57A
	v_mfma_f32_16x16x32_fp8_fp8 v[188:191], a[124:125], v[252:253], v[188:191]// 000000008D50: D3F300BC 0EF3F97C
	v_mfma_f32_16x16x32_fp8_fp8 v[188:191], a[126:127], v[254:255], v[188:191]// 000000008D58: D3F300BC 0EF3FD7E
	s_waitcnt vmcnt(24)                                        // 000000008D60: BF8C4F78
	s_barrier                                                  // 000000008D64: BF8A0000
	v_mfma_f32_16x16x32_fp8_fp8 v[64:67], a[128:129], v[224:225], v[64:67]// 000000008D68: D3F30040 0D03C180
	buffer_load_dwordx4 a[0:3], v34, s[24:27], 0 offen         // 000000008D70: E05C1000 80860022
	v_mfma_f32_16x16x32_fp8_fp8 v[64:67], a[130:131], v[226:227], v[64:67]// 000000008D78: D3F30040 0D03C582
	v_mfma_f32_16x16x32_fp8_fp8 v[64:67], a[132:133], v[228:229], v[64:67]// 000000008D80: D3F30040 0D03C984
	v_mfma_f32_16x16x32_fp8_fp8 v[64:67], a[134:135], v[230:231], v[64:67]// 000000008D88: D3F30040 0D03CD86
	v_mfma_f32_16x16x32_fp8_fp8 v[64:67], a[136:137], v[232:233], v[64:67]// 000000008D90: D3F30040 0D03D188
	buffer_load_dwordx4 a[4:7], v34, s[24:27], 0 offen offset:1024// 000000008D98: E05C1400 80860422
	v_mfma_f32_16x16x32_fp8_fp8 v[64:67], a[138:139], v[234:235], v[64:67]// 000000008DA0: D3F30040 0D03D58A
	v_mfma_f32_16x16x32_fp8_fp8 v[64:67], a[140:141], v[236:237], v[64:67]// 000000008DA8: D3F30040 0D03D98C
	v_mfma_f32_16x16x32_fp8_fp8 v[64:67], a[142:143], v[238:239], v[64:67]// 000000008DB0: D3F30040 0D03DD8E
	v_mfma_f32_16x16x32_fp8_fp8 v[68:71], a[128:129], v[240:241], v[68:71]// 000000008DB8: D3F30044 0D13E180
	buffer_load_dwordx4 a[8:11], v34, s[24:27], 0 offen offset:2048// 000000008DC0: E05C1800 80860822
	v_mfma_f32_16x16x32_fp8_fp8 v[68:71], a[130:131], v[242:243], v[68:71]// 000000008DC8: D3F30044 0D13E582
	v_mfma_f32_16x16x32_fp8_fp8 v[68:71], a[132:133], v[244:245], v[68:71]// 000000008DD0: D3F30044 0D13E984
	v_mfma_f32_16x16x32_fp8_fp8 v[68:71], a[134:135], v[246:247], v[68:71]// 000000008DD8: D3F30044 0D13ED86
	v_mfma_f32_16x16x32_fp8_fp8 v[68:71], a[136:137], v[248:249], v[68:71]// 000000008DE0: D3F30044 0D13F188
	buffer_load_dwordx4 a[12:15], v34, s[24:27], 0 offen offset:3072// 000000008DE8: E05C1C00 80860C22
	v_mfma_f32_16x16x32_fp8_fp8 v[68:71], a[138:139], v[250:251], v[68:71]// 000000008DF0: D3F30044 0D13F58A
	v_mfma_f32_16x16x32_fp8_fp8 v[68:71], a[140:141], v[252:253], v[68:71]// 000000008DF8: D3F30044 0D13F98C
	v_mfma_f32_16x16x32_fp8_fp8 v[68:71], a[142:143], v[254:255], v[68:71]// 000000008E00: D3F30044 0D13FD8E
	v_mfma_f32_16x16x32_fp8_fp8 v[72:75], a[144:145], v[224:225], v[72:75]// 000000008E08: D3F30048 0D23C190
	buffer_load_dwordx4 a[16:19], v35, s[24:27], 0 offen       // 000000008E10: E05C1000 80861023
	v_mfma_f32_16x16x32_fp8_fp8 v[72:75], a[146:147], v[226:227], v[72:75]// 000000008E18: D3F30048 0D23C592
	v_mfma_f32_16x16x32_fp8_fp8 v[72:75], a[148:149], v[228:229], v[72:75]// 000000008E20: D3F30048 0D23C994
	v_mfma_f32_16x16x32_fp8_fp8 v[72:75], a[150:151], v[230:231], v[72:75]// 000000008E28: D3F30048 0D23CD96
	v_mfma_f32_16x16x32_fp8_fp8 v[72:75], a[152:153], v[232:233], v[72:75]// 000000008E30: D3F30048 0D23D198
	buffer_load_dwordx4 a[20:23], v35, s[24:27], 0 offen offset:1024// 000000008E38: E05C1400 80861423
	v_mfma_f32_16x16x32_fp8_fp8 v[72:75], a[154:155], v[234:235], v[72:75]// 000000008E40: D3F30048 0D23D59A
	v_mfma_f32_16x16x32_fp8_fp8 v[72:75], a[156:157], v[236:237], v[72:75]// 000000008E48: D3F30048 0D23D99C
	v_mfma_f32_16x16x32_fp8_fp8 v[72:75], a[158:159], v[238:239], v[72:75]// 000000008E50: D3F30048 0D23DD9E
	v_mfma_f32_16x16x32_fp8_fp8 v[76:79], a[144:145], v[240:241], v[76:79]// 000000008E58: D3F3004C 0D33E190
	buffer_load_dwordx4 a[24:27], v35, s[24:27], 0 offen offset:2048// 000000008E60: E05C1800 80861823
	v_mfma_f32_16x16x32_fp8_fp8 v[76:79], a[146:147], v[242:243], v[76:79]// 000000008E68: D3F3004C 0D33E592
	v_mfma_f32_16x16x32_fp8_fp8 v[76:79], a[148:149], v[244:245], v[76:79]// 000000008E70: D3F3004C 0D33E994
	v_mfma_f32_16x16x32_fp8_fp8 v[76:79], a[150:151], v[246:247], v[76:79]// 000000008E78: D3F3004C 0D33ED96
	v_mfma_f32_16x16x32_fp8_fp8 v[76:79], a[152:153], v[248:249], v[76:79]// 000000008E80: D3F3004C 0D33F198
	buffer_load_dwordx4 a[28:31], v35, s[24:27], 0 offen offset:3072// 000000008E88: E05C1C00 80861C23
	v_mfma_f32_16x16x32_fp8_fp8 v[76:79], a[154:155], v[250:251], v[76:79]// 000000008E90: D3F3004C 0D33F59A
	v_mfma_f32_16x16x32_fp8_fp8 v[76:79], a[156:157], v[252:253], v[76:79]// 000000008E98: D3F3004C 0D33F99C
	v_mfma_f32_16x16x32_fp8_fp8 v[76:79], a[158:159], v[254:255], v[76:79]// 000000008EA0: D3F3004C 0D33FD9E
	s_waitcnt vmcnt(28)                                        // 000000008EA8: BF8C4F7C
	v_mfma_f32_16x16x32_fp8_fp8 v[80:83], a[160:161], v[224:225], v[80:83]// 000000008EAC: D3F30050 0D43C1A0
	buffer_load_dwordx4 a[32:35], v36, s[24:27], 0 offen       // 000000008EB4: E05C1000 80862024
	v_mfma_f32_16x16x32_fp8_fp8 v[80:83], a[162:163], v[226:227], v[80:83]// 000000008EBC: D3F30050 0D43C5A2
	v_mfma_f32_16x16x32_fp8_fp8 v[80:83], a[164:165], v[228:229], v[80:83]// 000000008EC4: D3F30050 0D43C9A4
	ds_read_b128 v[192:195], v2                                // 000000008ECC: D9FE0000 C0000002
	v_mfma_f32_16x16x32_fp8_fp8 v[80:83], a[166:167], v[230:231], v[80:83]// 000000008ED4: D3F30050 0D43CDA6
	v_mfma_f32_16x16x32_fp8_fp8 v[80:83], a[168:169], v[232:233], v[80:83]// 000000008EDC: D3F30050 0D43D1A8
	buffer_load_dwordx4 a[36:39], v36, s[24:27], 0 offen offset:1024// 000000008EE4: E05C1400 80862424
	v_mfma_f32_16x16x32_fp8_fp8 v[80:83], a[170:171], v[234:235], v[80:83]// 000000008EEC: D3F30050 0D43D5AA
	v_mfma_f32_16x16x32_fp8_fp8 v[80:83], a[172:173], v[236:237], v[80:83]// 000000008EF4: D3F30050 0D43D9AC
	ds_read_b128 v[196:199], v2 offset:64                      // 000000008EFC: D9FE0040 C4000002
	v_mfma_f32_16x16x32_fp8_fp8 v[80:83], a[174:175], v[238:239], v[80:83]// 000000008F04: D3F30050 0D43DDAE
	v_mfma_f32_16x16x32_fp8_fp8 v[84:87], a[160:161], v[240:241], v[84:87]// 000000008F0C: D3F30054 0D53E1A0
	buffer_load_dwordx4 a[40:43], v36, s[24:27], 0 offen offset:2048// 000000008F14: E05C1800 80862824
	v_mfma_f32_16x16x32_fp8_fp8 v[84:87], a[162:163], v[242:243], v[84:87]// 000000008F1C: D3F30054 0D53E5A2
	v_mfma_f32_16x16x32_fp8_fp8 v[84:87], a[164:165], v[244:245], v[84:87]// 000000008F24: D3F30054 0D53E9A4
	ds_read_b128 v[200:203], v2 offset:128                     // 000000008F2C: D9FE0080 C8000002
	v_mfma_f32_16x16x32_fp8_fp8 v[84:87], a[166:167], v[246:247], v[84:87]// 000000008F34: D3F30054 0D53EDA6
	v_mfma_f32_16x16x32_fp8_fp8 v[84:87], a[168:169], v[248:249], v[84:87]// 000000008F3C: D3F30054 0D53F1A8
	buffer_load_dwordx4 a[44:47], v36, s[24:27], 0 offen offset:3072// 000000008F44: E05C1C00 80862C24
	v_mfma_f32_16x16x32_fp8_fp8 v[84:87], a[170:171], v[250:251], v[84:87]// 000000008F4C: D3F30054 0D53F5AA
	v_mfma_f32_16x16x32_fp8_fp8 v[84:87], a[172:173], v[252:253], v[84:87]// 000000008F54: D3F30054 0D53F9AC
	ds_read_b128 v[204:207], v2 offset:192                     // 000000008F5C: D9FE00C0 CC000002
	v_mfma_f32_16x16x32_fp8_fp8 v[84:87], a[174:175], v[254:255], v[84:87]// 000000008F64: D3F30054 0D53FDAE
	s_waitcnt vmcnt(28)                                        // 000000008F6C: BF8C4F7C
	v_mfma_f32_16x16x32_fp8_fp8 v[88:91], a[176:177], v[224:225], v[88:91]// 000000008F70: D3F30058 0D63C1B0
	buffer_load_dwordx4 a[48:51], v37, s[24:27], 0 offen       // 000000008F78: E05C1000 80863025
	v_mfma_f32_16x16x32_fp8_fp8 v[88:91], a[178:179], v[226:227], v[88:91]// 000000008F80: D3F30058 0D63C5B2
	v_mfma_f32_16x16x32_fp8_fp8 v[88:91], a[180:181], v[228:229], v[88:91]// 000000008F88: D3F30058 0D63C9B4
	ds_read_b128 v[208:211], v2 offset:1024                    // 000000008F90: D9FE0400 D0000002
	v_mfma_f32_16x16x32_fp8_fp8 v[88:91], a[182:183], v[230:231], v[88:91]// 000000008F98: D3F30058 0D63CDB6
	v_mfma_f32_16x16x32_fp8_fp8 v[88:91], a[184:185], v[232:233], v[88:91]// 000000008FA0: D3F30058 0D63D1B8
	buffer_load_dwordx4 a[52:55], v37, s[24:27], 0 offen offset:1024// 000000008FA8: E05C1400 80863425
	v_mfma_f32_16x16x32_fp8_fp8 v[88:91], a[186:187], v[234:235], v[88:91]// 000000008FB0: D3F30058 0D63D5BA
	v_mfma_f32_16x16x32_fp8_fp8 v[88:91], a[188:189], v[236:237], v[88:91]// 000000008FB8: D3F30058 0D63D9BC
	ds_read_b128 v[212:215], v2 offset:1088                    // 000000008FC0: D9FE0440 D4000002
	v_mfma_f32_16x16x32_fp8_fp8 v[88:91], a[190:191], v[238:239], v[88:91]// 000000008FC8: D3F30058 0D63DDBE
	v_mfma_f32_16x16x32_fp8_fp8 v[92:95], a[176:177], v[240:241], v[92:95]// 000000008FD0: D3F3005C 0D73E1B0
	buffer_load_dwordx4 a[56:59], v37, s[24:27], 0 offen offset:2048// 000000008FD8: E05C1800 80863825
	v_mfma_f32_16x16x32_fp8_fp8 v[92:95], a[178:179], v[242:243], v[92:95]// 000000008FE0: D3F3005C 0D73E5B2
	v_mfma_f32_16x16x32_fp8_fp8 v[92:95], a[180:181], v[244:245], v[92:95]// 000000008FE8: D3F3005C 0D73E9B4
	ds_read_b128 v[216:219], v2 offset:1152                    // 000000008FF0: D9FE0480 D8000002
	v_mfma_f32_16x16x32_fp8_fp8 v[92:95], a[182:183], v[246:247], v[92:95]// 000000008FF8: D3F3005C 0D73EDB6
	v_mfma_f32_16x16x32_fp8_fp8 v[92:95], a[184:185], v[248:249], v[92:95]// 000000009000: D3F3005C 0D73F1B8
	buffer_load_dwordx4 a[60:63], v37, s[24:27], 0 offen offset:3072// 000000009008: E05C1C00 80863C25
	v_mfma_f32_16x16x32_fp8_fp8 v[92:95], a[186:187], v[250:251], v[92:95]// 000000009010: D3F3005C 0D73F5BA
	v_mfma_f32_16x16x32_fp8_fp8 v[92:95], a[188:189], v[252:253], v[92:95]// 000000009018: D3F3005C 0D73F9BC
	ds_read_b128 v[220:223], v2 offset:1216                    // 000000009020: D9FE04C0 DC000002
	v_mfma_f32_16x16x32_fp8_fp8 v[92:95], a[190:191], v[254:255], v[92:95]// 000000009028: D3F3005C 0D73FDBE
	s_waitcnt vmcnt(28)                                        // 000000009030: BF8C4F7C
	v_mfma_f32_16x16x32_fp8_fp8 v[96:99], a[192:193], v[224:225], v[96:99]// 000000009034: D3F30060 0D83C1C0
	buffer_load_dwordx4 a[64:67], v38, s[24:27], 0 offen       // 00000000903C: E05C1000 80864026
	v_mfma_f32_16x16x32_fp8_fp8 v[96:99], a[194:195], v[226:227], v[96:99]// 000000009044: D3F30060 0D83C5C2
	v_mfma_f32_16x16x32_fp8_fp8 v[96:99], a[196:197], v[228:229], v[96:99]// 00000000904C: D3F30060 0D83C9C4
	v_mfma_f32_16x16x32_fp8_fp8 v[96:99], a[198:199], v[230:231], v[96:99]// 000000009054: D3F30060 0D83CDC6
	v_mfma_f32_16x16x32_fp8_fp8 v[96:99], a[200:201], v[232:233], v[96:99]// 00000000905C: D3F30060 0D83D1C8
	buffer_load_dwordx4 a[68:71], v38, s[24:27], 0 offen offset:1024// 000000009064: E05C1400 80864426
	v_mfma_f32_16x16x32_fp8_fp8 v[96:99], a[202:203], v[234:235], v[96:99]// 00000000906C: D3F30060 0D83D5CA
	v_mfma_f32_16x16x32_fp8_fp8 v[96:99], a[204:205], v[236:237], v[96:99]// 000000009074: D3F30060 0D83D9CC
	v_mfma_f32_16x16x32_fp8_fp8 v[96:99], a[206:207], v[238:239], v[96:99]// 00000000907C: D3F30060 0D83DDCE
	v_mfma_f32_16x16x32_fp8_fp8 v[100:103], a[192:193], v[240:241], v[100:103]// 000000009084: D3F30064 0D93E1C0
	buffer_load_dwordx4 a[72:75], v38, s[24:27], 0 offen offset:2048// 00000000908C: E05C1800 80864826
	v_mfma_f32_16x16x32_fp8_fp8 v[100:103], a[194:195], v[242:243], v[100:103]// 000000009094: D3F30064 0D93E5C2
	v_mfma_f32_16x16x32_fp8_fp8 v[100:103], a[196:197], v[244:245], v[100:103]// 00000000909C: D3F30064 0D93E9C4
	v_mfma_f32_16x16x32_fp8_fp8 v[100:103], a[198:199], v[246:247], v[100:103]// 0000000090A4: D3F30064 0D93EDC6
	v_mfma_f32_16x16x32_fp8_fp8 v[100:103], a[200:201], v[248:249], v[100:103]// 0000000090AC: D3F30064 0D93F1C8
	buffer_load_dwordx4 a[76:79], v38, s[24:27], 0 offen offset:3072// 0000000090B4: E05C1C00 80864C26
	v_mfma_f32_16x16x32_fp8_fp8 v[100:103], a[202:203], v[250:251], v[100:103]// 0000000090BC: D3F30064 0D93F5CA
	v_mfma_f32_16x16x32_fp8_fp8 v[100:103], a[204:205], v[252:253], v[100:103]// 0000000090C4: D3F30064 0D93F9CC
	v_mfma_f32_16x16x32_fp8_fp8 v[100:103], a[206:207], v[254:255], v[100:103]// 0000000090CC: D3F30064 0D93FDCE
	s_waitcnt vmcnt(28)                                        // 0000000090D4: BF8C4F7C
	v_mfma_f32_16x16x32_fp8_fp8 v[104:107], a[208:209], v[224:225], v[104:107]// 0000000090D8: D3F30068 0DA3C1D0
	buffer_load_dwordx4 a[80:83], v39, s[24:27], 0 offen       // 0000000090E0: E05C1000 80865027
	v_mfma_f32_16x16x32_fp8_fp8 v[104:107], a[210:211], v[226:227], v[104:107]// 0000000090E8: D3F30068 0DA3C5D2
	v_mfma_f32_16x16x32_fp8_fp8 v[104:107], a[212:213], v[228:229], v[104:107]// 0000000090F0: D3F30068 0DA3C9D4
	v_mfma_f32_16x16x32_fp8_fp8 v[104:107], a[214:215], v[230:231], v[104:107]// 0000000090F8: D3F30068 0DA3CDD6
	v_mfma_f32_16x16x32_fp8_fp8 v[104:107], a[216:217], v[232:233], v[104:107]// 000000009100: D3F30068 0DA3D1D8
	buffer_load_dwordx4 a[84:87], v39, s[24:27], 0 offen offset:1024// 000000009108: E05C1400 80865427
	v_mfma_f32_16x16x32_fp8_fp8 v[104:107], a[218:219], v[234:235], v[104:107]// 000000009110: D3F30068 0DA3D5DA
	v_mfma_f32_16x16x32_fp8_fp8 v[104:107], a[220:221], v[236:237], v[104:107]// 000000009118: D3F30068 0DA3D9DC
	v_mfma_f32_16x16x32_fp8_fp8 v[104:107], a[222:223], v[238:239], v[104:107]// 000000009120: D3F30068 0DA3DDDE
	v_mfma_f32_16x16x32_fp8_fp8 v[108:111], a[208:209], v[240:241], v[108:111]// 000000009128: D3F3006C 0DB3E1D0
	buffer_load_dwordx4 a[88:91], v39, s[24:27], 0 offen offset:2048// 000000009130: E05C1800 80865827
	v_mfma_f32_16x16x32_fp8_fp8 v[108:111], a[210:211], v[242:243], v[108:111]// 000000009138: D3F3006C 0DB3E5D2
	v_mfma_f32_16x16x32_fp8_fp8 v[108:111], a[212:213], v[244:245], v[108:111]// 000000009140: D3F3006C 0DB3E9D4
	v_mfma_f32_16x16x32_fp8_fp8 v[108:111], a[214:215], v[246:247], v[108:111]// 000000009148: D3F3006C 0DB3EDD6
	v_mfma_f32_16x16x32_fp8_fp8 v[108:111], a[216:217], v[248:249], v[108:111]// 000000009150: D3F3006C 0DB3F1D8
	buffer_load_dwordx4 a[92:95], v39, s[24:27], 0 offen offset:3072// 000000009158: E05C1C00 80865C27
	v_mfma_f32_16x16x32_fp8_fp8 v[108:111], a[218:219], v[250:251], v[108:111]// 000000009160: D3F3006C 0DB3F5DA
	v_mfma_f32_16x16x32_fp8_fp8 v[108:111], a[220:221], v[252:253], v[108:111]// 000000009168: D3F3006C 0DB3F9DC
	v_mfma_f32_16x16x32_fp8_fp8 v[108:111], a[222:223], v[254:255], v[108:111]// 000000009170: D3F3006C 0DB3FDDE
	s_waitcnt vmcnt(28)                                        // 000000009178: BF8C4F7C
	v_mfma_f32_16x16x32_fp8_fp8 v[112:115], a[224:225], v[224:225], v[112:115]// 00000000917C: D3F30070 0DC3C1E0
	buffer_load_dwordx4 a[96:99], v40, s[24:27], 0 offen       // 000000009184: E05C1000 80866028
	v_mfma_f32_16x16x32_fp8_fp8 v[112:115], a[226:227], v[226:227], v[112:115]// 00000000918C: D3F30070 0DC3C5E2
	v_mfma_f32_16x16x32_fp8_fp8 v[112:115], a[228:229], v[228:229], v[112:115]// 000000009194: D3F30070 0DC3C9E4
	v_mfma_f32_16x16x32_fp8_fp8 v[112:115], a[230:231], v[230:231], v[112:115]// 00000000919C: D3F30070 0DC3CDE6
	v_mfma_f32_16x16x32_fp8_fp8 v[112:115], a[232:233], v[232:233], v[112:115]// 0000000091A4: D3F30070 0DC3D1E8
	buffer_load_dwordx4 a[100:103], v40, s[24:27], 0 offen offset:1024// 0000000091AC: E05C1400 80866428
	v_mfma_f32_16x16x32_fp8_fp8 v[112:115], a[234:235], v[234:235], v[112:115]// 0000000091B4: D3F30070 0DC3D5EA
	v_mfma_f32_16x16x32_fp8_fp8 v[112:115], a[236:237], v[236:237], v[112:115]// 0000000091BC: D3F30070 0DC3D9EC
	v_mfma_f32_16x16x32_fp8_fp8 v[112:115], a[238:239], v[238:239], v[112:115]// 0000000091C4: D3F30070 0DC3DDEE
	v_mfma_f32_16x16x32_fp8_fp8 v[116:119], a[224:225], v[240:241], v[116:119]// 0000000091CC: D3F30074 0DD3E1E0
	buffer_load_dwordx4 a[104:107], v40, s[24:27], 0 offen offset:2048// 0000000091D4: E05C1800 80866828
	v_mfma_f32_16x16x32_fp8_fp8 v[116:119], a[226:227], v[242:243], v[116:119]// 0000000091DC: D3F30074 0DD3E5E2
	v_mfma_f32_16x16x32_fp8_fp8 v[116:119], a[228:229], v[244:245], v[116:119]// 0000000091E4: D3F30074 0DD3E9E4
	v_mfma_f32_16x16x32_fp8_fp8 v[116:119], a[230:231], v[246:247], v[116:119]// 0000000091EC: D3F30074 0DD3EDE6
	v_mfma_f32_16x16x32_fp8_fp8 v[116:119], a[232:233], v[248:249], v[116:119]// 0000000091F4: D3F30074 0DD3F1E8
	buffer_load_dwordx4 a[108:111], v40, s[24:27], 0 offen offset:3072// 0000000091FC: E05C1C00 80866C28
	v_mfma_f32_16x16x32_fp8_fp8 v[116:119], a[234:235], v[250:251], v[116:119]// 000000009204: D3F30074 0DD3F5EA
	v_mfma_f32_16x16x32_fp8_fp8 v[116:119], a[236:237], v[252:253], v[116:119]// 00000000920C: D3F30074 0DD3F9EC
	v_mfma_f32_16x16x32_fp8_fp8 v[116:119], a[238:239], v[254:255], v[116:119]// 000000009214: D3F30074 0DD3FDEE
	s_waitcnt vmcnt(28)                                        // 00000000921C: BF8C4F7C
	v_mfma_f32_16x16x32_fp8_fp8 v[120:123], a[240:241], v[224:225], v[120:123]// 000000009220: D3F30078 0DE3C1F0
	buffer_load_dwordx4 a[112:115], v41, s[24:27], 0 offen     // 000000009228: E05C1000 80867029
	v_mfma_f32_16x16x32_fp8_fp8 v[120:123], a[242:243], v[226:227], v[120:123]// 000000009230: D3F30078 0DE3C5F2
	v_mfma_f32_16x16x32_fp8_fp8 v[120:123], a[244:245], v[228:229], v[120:123]// 000000009238: D3F30078 0DE3C9F4
	v_mfma_f32_16x16x32_fp8_fp8 v[120:123], a[246:247], v[230:231], v[120:123]// 000000009240: D3F30078 0DE3CDF6
	v_mfma_f32_16x16x32_fp8_fp8 v[120:123], a[248:249], v[232:233], v[120:123]// 000000009248: D3F30078 0DE3D1F8
	buffer_load_dwordx4 a[116:119], v41, s[24:27], 0 offen offset:1024// 000000009250: E05C1400 80867429
	v_mfma_f32_16x16x32_fp8_fp8 v[120:123], a[250:251], v[234:235], v[120:123]// 000000009258: D3F30078 0DE3D5FA
	v_mfma_f32_16x16x32_fp8_fp8 v[120:123], a[252:253], v[236:237], v[120:123]// 000000009260: D3F30078 0DE3D9FC
	v_mfma_f32_16x16x32_fp8_fp8 v[120:123], a[254:255], v[238:239], v[120:123]// 000000009268: D3F30078 0DE3DDFE
	v_mfma_f32_16x16x32_fp8_fp8 v[124:127], a[240:241], v[240:241], v[124:127]// 000000009270: D3F3007C 0DF3E1F0
	buffer_load_dwordx4 a[120:123], v41, s[24:27], 0 offen offset:2048// 000000009278: E05C1800 80867829
	v_mfma_f32_16x16x32_fp8_fp8 v[124:127], a[242:243], v[242:243], v[124:127]// 000000009280: D3F3007C 0DF3E5F2
	v_mfma_f32_16x16x32_fp8_fp8 v[124:127], a[244:245], v[244:245], v[124:127]// 000000009288: D3F3007C 0DF3E9F4
	v_mfma_f32_16x16x32_fp8_fp8 v[124:127], a[246:247], v[246:247], v[124:127]// 000000009290: D3F3007C 0DF3EDF6
	v_mfma_f32_16x16x32_fp8_fp8 v[124:127], a[248:249], v[248:249], v[124:127]// 000000009298: D3F3007C 0DF3F1F8
	buffer_load_dwordx4 a[124:127], v41, s[24:27], 0 offen offset:3072// 0000000092A0: E05C1C00 80867C29
	v_mfma_f32_16x16x32_fp8_fp8 v[124:127], a[250:251], v[250:251], v[124:127]// 0000000092A8: D3F3007C 0DF3F5FA
	v_mfma_f32_16x16x32_fp8_fp8 v[124:127], a[252:253], v[252:253], v[124:127]// 0000000092B0: D3F3007C 0DF3F9FC
	v_mfma_f32_16x16x32_fp8_fp8 v[124:127], a[254:255], v[254:255], v[124:127]// 0000000092B8: D3F3007C 0DF3FDFE
	s_add_u32 s60, 0x200, s80                                  // 0000000092C0: 803C50FF 00000200
	s_cmp_lt_u32 s60, s81                                      // 0000000092C8: BF0A513C
	s_cselect_b32 s57, s57, 0                                  // 0000000092CC: 85398039
	s_add_u32 s60, 0x200, s80                                  // 0000000092D0: 803C50FF 00000200
	s_cmp_lt_u32 s60, s81                                      // 0000000092D8: BF0A513C
	s_cselect_b32 s58, s58, 0                                  // 0000000092DC: 853A803A
	s_add_u32 s20, s57, s20                                    // 0000000092E0: 80141439
	s_addc_u32 s21, 0, s21                                     // 0000000092E4: 82151580
	s_add_u32 s24, s58, s24                                    // 0000000092E8: 8018183A
	s_addc_u32 s25, 0, s25                                     // 0000000092EC: 82191980
	s_add_u32 s92, s90, s92                                    // 0000000092F0: 805C5C5A
	s_addc_u32 s93, 0, s93                                     // 0000000092F4: 825D5D80
	s_addk_i32 s80, 0x100                                      // 0000000092F8: B7500100
	s_cmp_lt_i32 s80, s81                                      // 0000000092FC: BF045150
	s_cbranch_scc0 label_1A02                                  // 000000009300: BF840001
	s_branch label_1461                                        // 000000009304: BF82FA5F

0000000000009308 <label_1A02>:
	s_mov_b32 s36, -1                                          // 000000009308: BEA400C1
	s_mov_b32 s37, -1                                          // 00000000930C: BEA500C1
	s_mov_b64 s[60:61], 0                                      // 000000009310: BEBC0180
	s_cmp_lt_u32 s82, s66                                      // 000000009314: BF0A4252
	s_cselect_b64 s[20:21], s[36:37], s[60:61]                 // 000000009318: 85943C24
	s_cmp_lt_u32 s83, s66                                      // 00000000931C: BF0A4253
	s_cselect_b64 s[22:23], s[36:37], s[60:61]                 // 000000009320: 85963C24
	s_cmp_lt_u32 s84, s66                                      // 000000009324: BF0A4254
	s_cselect_b64 s[24:25], s[36:37], s[60:61]                 // 000000009328: 85983C24
	s_cmp_lt_u32 s85, s66                                      // 00000000932C: BF0A4255
	s_cselect_b64 s[26:27], s[36:37], s[60:61]                 // 000000009330: 859A3C24
	s_cmp_lt_u32 s86, s66                                      // 000000009334: BF0A4256
	s_cselect_b64 s[28:29], s[36:37], s[60:61]                 // 000000009338: 859C3C24
	s_cmp_lt_u32 s87, s66                                      // 00000000933C: BF0A4257
	s_cselect_b64 s[30:31], s[36:37], s[60:61]                 // 000000009340: 859E3C24
	s_cmp_lt_u32 s88, s66                                      // 000000009344: BF0A4258
	s_cselect_b64 s[32:33], s[36:37], s[60:61]                 // 000000009348: 85A03C24
	s_cmp_lt_u32 s89, s66                                      // 00000000934C: BF0A4259
	s_cselect_b64 s[34:35], s[36:37], s[60:61]                 // 000000009350: 85A23C24
	v_mul_f32_e32 v128, v14, v128                              // 000000009354: 0B01010E
	v_mul_f32_e32 v129, v14, v129                              // 000000009358: 0B03030E
	v_mul_f32_e32 v130, v14, v130                              // 00000000935C: 0B05050E
	v_mul_f32_e32 v131, v14, v131                              // 000000009360: 0B07070E
	v_mul_f32_dpp v128, v16, v128 row_newbcast:0 row_mask:0xf bank_mask:0xf// 000000009364: 0B0100FA FF015010
	v_mul_f32_dpp v129, v16, v129 row_newbcast:1 row_mask:0xf bank_mask:0xf// 00000000936C: 0B0302FA FF015110
	v_mul_f32_dpp v130, v16, v130 row_newbcast:2 row_mask:0xf bank_mask:0xf// 000000009374: 0B0504FA FF015210
	v_mul_f32_dpp v131, v16, v131 row_newbcast:3 row_mask:0xf bank_mask:0xf// 00000000937C: 0B0706FA FF015310
	v_mul_f32_e32 v132, v15, v132                              // 000000009384: 0B09090F
	v_mul_f32_e32 v133, v15, v133                              // 000000009388: 0B0B0B0F
	v_mul_f32_e32 v134, v15, v134                              // 00000000938C: 0B0D0D0F
	v_mul_f32_e32 v135, v15, v135                              // 000000009390: 0B0F0F0F
	v_mul_f32_dpp v132, v16, v132 row_newbcast:0 row_mask:0xf bank_mask:0xf// 000000009394: 0B0908FA FF015010
	v_mul_f32_dpp v133, v16, v133 row_newbcast:1 row_mask:0xf bank_mask:0xf// 00000000939C: 0B0B0AFA FF015110
	v_mul_f32_dpp v134, v16, v134 row_newbcast:2 row_mask:0xf bank_mask:0xf// 0000000093A4: 0B0D0CFA FF015210
	v_mul_f32_dpp v135, v16, v135 row_newbcast:3 row_mask:0xf bank_mask:0xf// 0000000093AC: 0B0F0EFA FF015310
	v_mul_f32_e32 v136, v14, v136                              // 0000000093B4: 0B11110E
	v_mul_f32_e32 v137, v14, v137                              // 0000000093B8: 0B13130E
	v_mul_f32_e32 v138, v14, v138                              // 0000000093BC: 0B15150E
	v_mul_f32_e32 v139, v14, v139                              // 0000000093C0: 0B17170E
	v_mul_f32_dpp v136, v16, v136 row_newbcast:4 row_mask:0xf bank_mask:0xf// 0000000093C4: 0B1110FA FF015410
	v_mul_f32_dpp v137, v16, v137 row_newbcast:5 row_mask:0xf bank_mask:0xf// 0000000093CC: 0B1312FA FF015510
	v_mul_f32_dpp v138, v16, v138 row_newbcast:6 row_mask:0xf bank_mask:0xf// 0000000093D4: 0B1514FA FF015610
	v_mul_f32_dpp v139, v16, v139 row_newbcast:7 row_mask:0xf bank_mask:0xf// 0000000093DC: 0B1716FA FF015710
	v_mul_f32_e32 v140, v15, v140                              // 0000000093E4: 0B19190F
	v_mul_f32_e32 v141, v15, v141                              // 0000000093E8: 0B1B1B0F
	v_mul_f32_e32 v142, v15, v142                              // 0000000093EC: 0B1D1D0F
	v_mul_f32_e32 v143, v15, v143                              // 0000000093F0: 0B1F1F0F
	v_mul_f32_dpp v140, v16, v140 row_newbcast:4 row_mask:0xf bank_mask:0xf// 0000000093F4: 0B1918FA FF015410
	v_mul_f32_dpp v141, v16, v141 row_newbcast:5 row_mask:0xf bank_mask:0xf// 0000000093FC: 0B1B1AFA FF015510
	v_mul_f32_dpp v142, v16, v142 row_newbcast:6 row_mask:0xf bank_mask:0xf// 000000009404: 0B1D1CFA FF015610
	v_mul_f32_dpp v143, v16, v143 row_newbcast:7 row_mask:0xf bank_mask:0xf// 00000000940C: 0B1F1EFA FF015710
	v_mul_f32_e32 v144, v14, v144                              // 000000009414: 0B21210E
	v_mul_f32_e32 v145, v14, v145                              // 000000009418: 0B23230E
	v_mul_f32_e32 v146, v14, v146                              // 00000000941C: 0B25250E
	v_mul_f32_e32 v147, v14, v147                              // 000000009420: 0B27270E
	v_mul_f32_dpp v144, v16, v144 row_newbcast:8 row_mask:0xf bank_mask:0xf// 000000009424: 0B2120FA FF015810
	v_mul_f32_dpp v145, v16, v145 row_newbcast:9 row_mask:0xf bank_mask:0xf// 00000000942C: 0B2322FA FF015910
	v_mul_f32_dpp v146, v16, v146 row_newbcast:10 row_mask:0xf bank_mask:0xf// 000000009434: 0B2524FA FF015A10
	v_mul_f32_dpp v147, v16, v147 row_newbcast:11 row_mask:0xf bank_mask:0xf// 00000000943C: 0B2726FA FF015B10
	v_mul_f32_e32 v148, v15, v148                              // 000000009444: 0B29290F
	v_mul_f32_e32 v149, v15, v149                              // 000000009448: 0B2B2B0F
	v_mul_f32_e32 v150, v15, v150                              // 00000000944C: 0B2D2D0F
	v_mul_f32_e32 v151, v15, v151                              // 000000009450: 0B2F2F0F
	v_mul_f32_dpp v148, v16, v148 row_newbcast:8 row_mask:0xf bank_mask:0xf// 000000009454: 0B2928FA FF015810
	v_mul_f32_dpp v149, v16, v149 row_newbcast:9 row_mask:0xf bank_mask:0xf// 00000000945C: 0B2B2AFA FF015910
	v_mul_f32_dpp v150, v16, v150 row_newbcast:10 row_mask:0xf bank_mask:0xf// 000000009464: 0B2D2CFA FF015A10
	v_mul_f32_dpp v151, v16, v151 row_newbcast:11 row_mask:0xf bank_mask:0xf// 00000000946C: 0B2F2EFA FF015B10
	v_mul_f32_e32 v152, v14, v152                              // 000000009474: 0B31310E
	v_mul_f32_e32 v153, v14, v153                              // 000000009478: 0B33330E
	v_mul_f32_e32 v154, v14, v154                              // 00000000947C: 0B35350E
	v_mul_f32_e32 v155, v14, v155                              // 000000009480: 0B37370E
	v_mul_f32_dpp v152, v16, v152 row_newbcast:12 row_mask:0xf bank_mask:0xf// 000000009484: 0B3130FA FF015C10
	v_mul_f32_dpp v153, v16, v153 row_newbcast:13 row_mask:0xf bank_mask:0xf// 00000000948C: 0B3332FA FF015D10
	v_mul_f32_dpp v154, v16, v154 row_newbcast:14 row_mask:0xf bank_mask:0xf// 000000009494: 0B3534FA FF015E10
	v_mul_f32_dpp v155, v16, v155 row_newbcast:15 row_mask:0xf bank_mask:0xf// 00000000949C: 0B3736FA FF015F10
	v_mul_f32_e32 v156, v15, v156                              // 0000000094A4: 0B39390F
	v_mul_f32_e32 v157, v15, v157                              // 0000000094A8: 0B3B3B0F
	v_mul_f32_e32 v158, v15, v158                              // 0000000094AC: 0B3D3D0F
	v_mul_f32_e32 v159, v15, v159                              // 0000000094B0: 0B3F3F0F
	v_mul_f32_dpp v156, v16, v156 row_newbcast:12 row_mask:0xf bank_mask:0xf// 0000000094B4: 0B3938FA FF015C10
	v_mul_f32_dpp v157, v16, v157 row_newbcast:13 row_mask:0xf bank_mask:0xf// 0000000094BC: 0B3B3AFA FF015D10
	v_mul_f32_dpp v158, v16, v158 row_newbcast:14 row_mask:0xf bank_mask:0xf// 0000000094C4: 0B3D3CFA FF015E10
	v_mul_f32_dpp v159, v16, v159 row_newbcast:15 row_mask:0xf bank_mask:0xf// 0000000094CC: 0B3F3EFA FF015F10
	v_mul_f32_e32 v160, v14, v160                              // 0000000094D4: 0B41410E
	v_mul_f32_e32 v161, v14, v161                              // 0000000094D8: 0B43430E
	v_mul_f32_e32 v162, v14, v162                              // 0000000094DC: 0B45450E
	v_mul_f32_e32 v163, v14, v163                              // 0000000094E0: 0B47470E
	v_mul_f32_dpp v160, v17, v160 row_newbcast:0 row_mask:0xf bank_mask:0xf// 0000000094E4: 0B4140FA FF015011
	v_mul_f32_dpp v161, v17, v161 row_newbcast:1 row_mask:0xf bank_mask:0xf// 0000000094EC: 0B4342FA FF015111
	v_mul_f32_dpp v162, v17, v162 row_newbcast:2 row_mask:0xf bank_mask:0xf// 0000000094F4: 0B4544FA FF015211
	v_mul_f32_dpp v163, v17, v163 row_newbcast:3 row_mask:0xf bank_mask:0xf// 0000000094FC: 0B4746FA FF015311
	v_mul_f32_e32 v164, v15, v164                              // 000000009504: 0B49490F
	v_mul_f32_e32 v165, v15, v165                              // 000000009508: 0B4B4B0F
	v_mul_f32_e32 v166, v15, v166                              // 00000000950C: 0B4D4D0F
	v_mul_f32_e32 v167, v15, v167                              // 000000009510: 0B4F4F0F
	v_mul_f32_dpp v164, v17, v164 row_newbcast:0 row_mask:0xf bank_mask:0xf// 000000009514: 0B4948FA FF015011
	v_mul_f32_dpp v165, v17, v165 row_newbcast:1 row_mask:0xf bank_mask:0xf// 00000000951C: 0B4B4AFA FF015111
	v_mul_f32_dpp v166, v17, v166 row_newbcast:2 row_mask:0xf bank_mask:0xf// 000000009524: 0B4D4CFA FF015211
	v_mul_f32_dpp v167, v17, v167 row_newbcast:3 row_mask:0xf bank_mask:0xf// 00000000952C: 0B4F4EFA FF015311
	v_mul_f32_e32 v168, v14, v168                              // 000000009534: 0B51510E
	v_mul_f32_e32 v169, v14, v169                              // 000000009538: 0B53530E
	v_mul_f32_e32 v170, v14, v170                              // 00000000953C: 0B55550E
	v_mul_f32_e32 v171, v14, v171                              // 000000009540: 0B57570E
	v_mul_f32_dpp v168, v17, v168 row_newbcast:4 row_mask:0xf bank_mask:0xf// 000000009544: 0B5150FA FF015411
	v_mul_f32_dpp v169, v17, v169 row_newbcast:5 row_mask:0xf bank_mask:0xf// 00000000954C: 0B5352FA FF015511
	v_mul_f32_dpp v170, v17, v170 row_newbcast:6 row_mask:0xf bank_mask:0xf// 000000009554: 0B5554FA FF015611
	v_mul_f32_dpp v171, v17, v171 row_newbcast:7 row_mask:0xf bank_mask:0xf// 00000000955C: 0B5756FA FF015711
	v_mul_f32_e32 v172, v15, v172                              // 000000009564: 0B59590F
	v_mul_f32_e32 v173, v15, v173                              // 000000009568: 0B5B5B0F
	v_mul_f32_e32 v174, v15, v174                              // 00000000956C: 0B5D5D0F
	v_mul_f32_e32 v175, v15, v175                              // 000000009570: 0B5F5F0F
	v_mul_f32_dpp v172, v17, v172 row_newbcast:4 row_mask:0xf bank_mask:0xf// 000000009574: 0B5958FA FF015411
	v_mul_f32_dpp v173, v17, v173 row_newbcast:5 row_mask:0xf bank_mask:0xf// 00000000957C: 0B5B5AFA FF015511
	v_mul_f32_dpp v174, v17, v174 row_newbcast:6 row_mask:0xf bank_mask:0xf// 000000009584: 0B5D5CFA FF015611
	v_mul_f32_dpp v175, v17, v175 row_newbcast:7 row_mask:0xf bank_mask:0xf// 00000000958C: 0B5F5EFA FF015711
	v_mul_f32_e32 v176, v14, v176                              // 000000009594: 0B61610E
	v_mul_f32_e32 v177, v14, v177                              // 000000009598: 0B63630E
	v_mul_f32_e32 v178, v14, v178                              // 00000000959C: 0B65650E
	v_mul_f32_e32 v179, v14, v179                              // 0000000095A0: 0B67670E
	v_mul_f32_dpp v176, v17, v176 row_newbcast:8 row_mask:0xf bank_mask:0xf// 0000000095A4: 0B6160FA FF015811
	v_mul_f32_dpp v177, v17, v177 row_newbcast:9 row_mask:0xf bank_mask:0xf// 0000000095AC: 0B6362FA FF015911
	v_mul_f32_dpp v178, v17, v178 row_newbcast:10 row_mask:0xf bank_mask:0xf// 0000000095B4: 0B6564FA FF015A11
	v_mul_f32_dpp v179, v17, v179 row_newbcast:11 row_mask:0xf bank_mask:0xf// 0000000095BC: 0B6766FA FF015B11
	v_mul_f32_e32 v180, v15, v180                              // 0000000095C4: 0B69690F
	v_mul_f32_e32 v181, v15, v181                              // 0000000095C8: 0B6B6B0F
	v_mul_f32_e32 v182, v15, v182                              // 0000000095CC: 0B6D6D0F
	v_mul_f32_e32 v183, v15, v183                              // 0000000095D0: 0B6F6F0F
	v_mul_f32_dpp v180, v17, v180 row_newbcast:8 row_mask:0xf bank_mask:0xf// 0000000095D4: 0B6968FA FF015811
	v_mul_f32_dpp v181, v17, v181 row_newbcast:9 row_mask:0xf bank_mask:0xf// 0000000095DC: 0B6B6AFA FF015911
	v_mul_f32_dpp v182, v17, v182 row_newbcast:10 row_mask:0xf bank_mask:0xf// 0000000095E4: 0B6D6CFA FF015A11
	v_mul_f32_dpp v183, v17, v183 row_newbcast:11 row_mask:0xf bank_mask:0xf// 0000000095EC: 0B6F6EFA FF015B11
	v_mul_f32_e32 v184, v14, v184                              // 0000000095F4: 0B71710E
	v_mul_f32_e32 v185, v14, v185                              // 0000000095F8: 0B73730E
	v_mul_f32_e32 v186, v14, v186                              // 0000000095FC: 0B75750E
	v_mul_f32_e32 v187, v14, v187                              // 000000009600: 0B77770E
	v_mul_f32_dpp v184, v17, v184 row_newbcast:12 row_mask:0xf bank_mask:0xf// 000000009604: 0B7170FA FF015C11
	v_mul_f32_dpp v185, v17, v185 row_newbcast:13 row_mask:0xf bank_mask:0xf// 00000000960C: 0B7372FA FF015D11
	v_mul_f32_dpp v186, v17, v186 row_newbcast:14 row_mask:0xf bank_mask:0xf// 000000009614: 0B7574FA FF015E11
	v_mul_f32_dpp v187, v17, v187 row_newbcast:15 row_mask:0xf bank_mask:0xf// 00000000961C: 0B7776FA FF015F11
	v_mul_f32_e32 v188, v15, v188                              // 000000009624: 0B79790F
	v_mul_f32_e32 v189, v15, v189                              // 000000009628: 0B7B7B0F
	v_mul_f32_e32 v190, v15, v190                              // 00000000962C: 0B7D7D0F
	v_mul_f32_e32 v191, v15, v191                              // 000000009630: 0B7F7F0F
	v_mul_f32_dpp v188, v17, v188 row_newbcast:12 row_mask:0xf bank_mask:0xf// 000000009634: 0B7978FA FF015C11
	v_mul_f32_dpp v189, v17, v189 row_newbcast:13 row_mask:0xf bank_mask:0xf// 00000000963C: 0B7B7AFA FF015D11
	v_mul_f32_dpp v190, v17, v190 row_newbcast:14 row_mask:0xf bank_mask:0xf// 000000009644: 0B7D7CFA FF015E11
	v_mul_f32_dpp v191, v17, v191 row_newbcast:15 row_mask:0xf bank_mask:0xf// 00000000964C: 0B7F7EFA FF015F11
	v_mul_f32_e32 v64, v14, v64                                // 000000009654: 0A80810E
	v_mul_f32_e32 v65, v14, v65                                // 000000009658: 0A82830E
	v_mul_f32_e32 v66, v14, v66                                // 00000000965C: 0A84850E
	v_mul_f32_e32 v67, v14, v67                                // 000000009660: 0A86870E
	v_mul_f32_dpp v64, v50, v64 row_newbcast:0 row_mask:0xf bank_mask:0xf// 000000009664: 0A8080FA FF015032
	v_mul_f32_dpp v65, v50, v65 row_newbcast:1 row_mask:0xf bank_mask:0xf// 00000000966C: 0A8282FA FF015132
	v_mul_f32_dpp v66, v50, v66 row_newbcast:2 row_mask:0xf bank_mask:0xf// 000000009674: 0A8484FA FF015232
	v_mul_f32_dpp v67, v50, v67 row_newbcast:3 row_mask:0xf bank_mask:0xf// 00000000967C: 0A8686FA FF015332
	v_mul_f32_e32 v68, v15, v68                                // 000000009684: 0A88890F
	v_mul_f32_e32 v69, v15, v69                                // 000000009688: 0A8A8B0F
	v_mul_f32_e32 v70, v15, v70                                // 00000000968C: 0A8C8D0F
	v_mul_f32_e32 v71, v15, v71                                // 000000009690: 0A8E8F0F
	v_mul_f32_dpp v68, v50, v68 row_newbcast:0 row_mask:0xf bank_mask:0xf// 000000009694: 0A8888FA FF015032
	v_mul_f32_dpp v69, v50, v69 row_newbcast:1 row_mask:0xf bank_mask:0xf// 00000000969C: 0A8A8AFA FF015132
	v_mul_f32_dpp v70, v50, v70 row_newbcast:2 row_mask:0xf bank_mask:0xf// 0000000096A4: 0A8C8CFA FF015232
	v_mul_f32_dpp v71, v50, v71 row_newbcast:3 row_mask:0xf bank_mask:0xf// 0000000096AC: 0A8E8EFA FF015332
	v_mul_f32_e32 v72, v14, v72                                // 0000000096B4: 0A90910E
	v_mul_f32_e32 v73, v14, v73                                // 0000000096B8: 0A92930E
	v_mul_f32_e32 v74, v14, v74                                // 0000000096BC: 0A94950E
	v_mul_f32_e32 v75, v14, v75                                // 0000000096C0: 0A96970E
	v_mul_f32_dpp v72, v50, v72 row_newbcast:4 row_mask:0xf bank_mask:0xf// 0000000096C4: 0A9090FA FF015432
	v_mul_f32_dpp v73, v50, v73 row_newbcast:5 row_mask:0xf bank_mask:0xf// 0000000096CC: 0A9292FA FF015532
	v_mul_f32_dpp v74, v50, v74 row_newbcast:6 row_mask:0xf bank_mask:0xf// 0000000096D4: 0A9494FA FF015632
	v_mul_f32_dpp v75, v50, v75 row_newbcast:7 row_mask:0xf bank_mask:0xf// 0000000096DC: 0A9696FA FF015732
	v_mul_f32_e32 v76, v15, v76                                // 0000000096E4: 0A98990F
	v_mul_f32_e32 v77, v15, v77                                // 0000000096E8: 0A9A9B0F
	v_mul_f32_e32 v78, v15, v78                                // 0000000096EC: 0A9C9D0F
	v_mul_f32_e32 v79, v15, v79                                // 0000000096F0: 0A9E9F0F
	v_mul_f32_dpp v76, v50, v76 row_newbcast:4 row_mask:0xf bank_mask:0xf// 0000000096F4: 0A9898FA FF015432
	v_mul_f32_dpp v77, v50, v77 row_newbcast:5 row_mask:0xf bank_mask:0xf// 0000000096FC: 0A9A9AFA FF015532
	v_mul_f32_dpp v78, v50, v78 row_newbcast:6 row_mask:0xf bank_mask:0xf// 000000009704: 0A9C9CFA FF015632
	v_mul_f32_dpp v79, v50, v79 row_newbcast:7 row_mask:0xf bank_mask:0xf// 00000000970C: 0A9E9EFA FF015732
	v_mul_f32_e32 v80, v14, v80                                // 000000009714: 0AA0A10E
	v_mul_f32_e32 v81, v14, v81                                // 000000009718: 0AA2A30E
	v_mul_f32_e32 v82, v14, v82                                // 00000000971C: 0AA4A50E
	v_mul_f32_e32 v83, v14, v83                                // 000000009720: 0AA6A70E
	v_mul_f32_dpp v80, v50, v80 row_newbcast:8 row_mask:0xf bank_mask:0xf// 000000009724: 0AA0A0FA FF015832
	v_mul_f32_dpp v81, v50, v81 row_newbcast:9 row_mask:0xf bank_mask:0xf// 00000000972C: 0AA2A2FA FF015932
	v_mul_f32_dpp v82, v50, v82 row_newbcast:10 row_mask:0xf bank_mask:0xf// 000000009734: 0AA4A4FA FF015A32
	v_mul_f32_dpp v83, v50, v83 row_newbcast:11 row_mask:0xf bank_mask:0xf// 00000000973C: 0AA6A6FA FF015B32
	v_mul_f32_e32 v84, v15, v84                                // 000000009744: 0AA8A90F
	v_mul_f32_e32 v85, v15, v85                                // 000000009748: 0AAAAB0F
	v_mul_f32_e32 v86, v15, v86                                // 00000000974C: 0AACAD0F
	v_mul_f32_e32 v87, v15, v87                                // 000000009750: 0AAEAF0F
	v_mul_f32_dpp v84, v50, v84 row_newbcast:8 row_mask:0xf bank_mask:0xf// 000000009754: 0AA8A8FA FF015832
	v_mul_f32_dpp v85, v50, v85 row_newbcast:9 row_mask:0xf bank_mask:0xf// 00000000975C: 0AAAAAFA FF015932
	v_mul_f32_dpp v86, v50, v86 row_newbcast:10 row_mask:0xf bank_mask:0xf// 000000009764: 0AACACFA FF015A32
	v_mul_f32_dpp v87, v50, v87 row_newbcast:11 row_mask:0xf bank_mask:0xf// 00000000976C: 0AAEAEFA FF015B32
	v_mul_f32_e32 v88, v14, v88                                // 000000009774: 0AB0B10E
	v_mul_f32_e32 v89, v14, v89                                // 000000009778: 0AB2B30E
	v_mul_f32_e32 v90, v14, v90                                // 00000000977C: 0AB4B50E
	v_mul_f32_e32 v91, v14, v91                                // 000000009780: 0AB6B70E
	v_mul_f32_dpp v88, v50, v88 row_newbcast:12 row_mask:0xf bank_mask:0xf// 000000009784: 0AB0B0FA FF015C32
	v_mul_f32_dpp v89, v50, v89 row_newbcast:13 row_mask:0xf bank_mask:0xf// 00000000978C: 0AB2B2FA FF015D32
	v_mul_f32_dpp v90, v50, v90 row_newbcast:14 row_mask:0xf bank_mask:0xf// 000000009794: 0AB4B4FA FF015E32
	v_mul_f32_dpp v91, v50, v91 row_newbcast:15 row_mask:0xf bank_mask:0xf// 00000000979C: 0AB6B6FA FF015F32
	v_mul_f32_e32 v92, v15, v92                                // 0000000097A4: 0AB8B90F
	v_mul_f32_e32 v93, v15, v93                                // 0000000097A8: 0ABABB0F
	v_mul_f32_e32 v94, v15, v94                                // 0000000097AC: 0ABCBD0F
	v_mul_f32_e32 v95, v15, v95                                // 0000000097B0: 0ABEBF0F
	v_mul_f32_dpp v92, v50, v92 row_newbcast:12 row_mask:0xf bank_mask:0xf// 0000000097B4: 0AB8B8FA FF015C32
	v_mul_f32_dpp v93, v50, v93 row_newbcast:13 row_mask:0xf bank_mask:0xf// 0000000097BC: 0ABABAFA FF015D32
	v_mul_f32_dpp v94, v50, v94 row_newbcast:14 row_mask:0xf bank_mask:0xf// 0000000097C4: 0ABCBCFA FF015E32
	v_mul_f32_dpp v95, v50, v95 row_newbcast:15 row_mask:0xf bank_mask:0xf// 0000000097CC: 0ABEBEFA FF015F32
	v_mul_f32_e32 v96, v14, v96                                // 0000000097D4: 0AC0C10E
	v_mul_f32_e32 v97, v14, v97                                // 0000000097D8: 0AC2C30E
	v_mul_f32_e32 v98, v14, v98                                // 0000000097DC: 0AC4C50E
	v_mul_f32_e32 v99, v14, v99                                // 0000000097E0: 0AC6C70E
	v_mul_f32_dpp v96, v51, v96 row_newbcast:0 row_mask:0xf bank_mask:0xf// 0000000097E4: 0AC0C0FA FF015033
	v_mul_f32_dpp v97, v51, v97 row_newbcast:1 row_mask:0xf bank_mask:0xf// 0000000097EC: 0AC2C2FA FF015133
	v_mul_f32_dpp v98, v51, v98 row_newbcast:2 row_mask:0xf bank_mask:0xf// 0000000097F4: 0AC4C4FA FF015233
	v_mul_f32_dpp v99, v51, v99 row_newbcast:3 row_mask:0xf bank_mask:0xf// 0000000097FC: 0AC6C6FA FF015333
	v_mul_f32_e32 v100, v15, v100                              // 000000009804: 0AC8C90F
	v_mul_f32_e32 v101, v15, v101                              // 000000009808: 0ACACB0F
	v_mul_f32_e32 v102, v15, v102                              // 00000000980C: 0ACCCD0F
	v_mul_f32_e32 v103, v15, v103                              // 000000009810: 0ACECF0F
	v_mul_f32_dpp v100, v51, v100 row_newbcast:0 row_mask:0xf bank_mask:0xf// 000000009814: 0AC8C8FA FF015033
	v_mul_f32_dpp v101, v51, v101 row_newbcast:1 row_mask:0xf bank_mask:0xf// 00000000981C: 0ACACAFA FF015133
	v_mul_f32_dpp v102, v51, v102 row_newbcast:2 row_mask:0xf bank_mask:0xf// 000000009824: 0ACCCCFA FF015233
	v_mul_f32_dpp v103, v51, v103 row_newbcast:3 row_mask:0xf bank_mask:0xf// 00000000982C: 0ACECEFA FF015333
	v_mul_f32_e32 v104, v14, v104                              // 000000009834: 0AD0D10E
	v_mul_f32_e32 v105, v14, v105                              // 000000009838: 0AD2D30E
	v_mul_f32_e32 v106, v14, v106                              // 00000000983C: 0AD4D50E
	v_mul_f32_e32 v107, v14, v107                              // 000000009840: 0AD6D70E
	v_mul_f32_dpp v104, v51, v104 row_newbcast:4 row_mask:0xf bank_mask:0xf// 000000009844: 0AD0D0FA FF015433
	v_mul_f32_dpp v105, v51, v105 row_newbcast:5 row_mask:0xf bank_mask:0xf// 00000000984C: 0AD2D2FA FF015533
	v_mul_f32_dpp v106, v51, v106 row_newbcast:6 row_mask:0xf bank_mask:0xf// 000000009854: 0AD4D4FA FF015633
	v_mul_f32_dpp v107, v51, v107 row_newbcast:7 row_mask:0xf bank_mask:0xf// 00000000985C: 0AD6D6FA FF015733
	v_mul_f32_e32 v108, v15, v108                              // 000000009864: 0AD8D90F
	v_mul_f32_e32 v109, v15, v109                              // 000000009868: 0ADADB0F
	v_mul_f32_e32 v110, v15, v110                              // 00000000986C: 0ADCDD0F
	v_mul_f32_e32 v111, v15, v111                              // 000000009870: 0ADEDF0F
	v_mul_f32_dpp v108, v51, v108 row_newbcast:4 row_mask:0xf bank_mask:0xf// 000000009874: 0AD8D8FA FF015433
	v_mul_f32_dpp v109, v51, v109 row_newbcast:5 row_mask:0xf bank_mask:0xf// 00000000987C: 0ADADAFA FF015533
	v_mul_f32_dpp v110, v51, v110 row_newbcast:6 row_mask:0xf bank_mask:0xf// 000000009884: 0ADCDCFA FF015633
	v_mul_f32_dpp v111, v51, v111 row_newbcast:7 row_mask:0xf bank_mask:0xf// 00000000988C: 0ADEDEFA FF015733
	v_mul_f32_e32 v112, v14, v112                              // 000000009894: 0AE0E10E
	v_mul_f32_e32 v113, v14, v113                              // 000000009898: 0AE2E30E
	v_mul_f32_e32 v114, v14, v114                              // 00000000989C: 0AE4E50E
	v_mul_f32_e32 v115, v14, v115                              // 0000000098A0: 0AE6E70E
	v_mul_f32_dpp v112, v51, v112 row_newbcast:8 row_mask:0xf bank_mask:0xf// 0000000098A4: 0AE0E0FA FF015833
	v_mul_f32_dpp v113, v51, v113 row_newbcast:9 row_mask:0xf bank_mask:0xf// 0000000098AC: 0AE2E2FA FF015933
	v_mul_f32_dpp v114, v51, v114 row_newbcast:10 row_mask:0xf bank_mask:0xf// 0000000098B4: 0AE4E4FA FF015A33
	v_mul_f32_dpp v115, v51, v115 row_newbcast:11 row_mask:0xf bank_mask:0xf// 0000000098BC: 0AE6E6FA FF015B33
	v_mul_f32_e32 v116, v15, v116                              // 0000000098C4: 0AE8E90F
	v_mul_f32_e32 v117, v15, v117                              // 0000000098C8: 0AEAEB0F
	v_mul_f32_e32 v118, v15, v118                              // 0000000098CC: 0AECED0F
	v_mul_f32_e32 v119, v15, v119                              // 0000000098D0: 0AEEEF0F
	v_mul_f32_dpp v116, v51, v116 row_newbcast:8 row_mask:0xf bank_mask:0xf// 0000000098D4: 0AE8E8FA FF015833
	v_mul_f32_dpp v117, v51, v117 row_newbcast:9 row_mask:0xf bank_mask:0xf// 0000000098DC: 0AEAEAFA FF015933
	v_mul_f32_dpp v118, v51, v118 row_newbcast:10 row_mask:0xf bank_mask:0xf// 0000000098E4: 0AECECFA FF015A33
	v_mul_f32_dpp v119, v51, v119 row_newbcast:11 row_mask:0xf bank_mask:0xf// 0000000098EC: 0AEEEEFA FF015B33
	v_mul_f32_e32 v120, v14, v120                              // 0000000098F4: 0AF0F10E
	v_mul_f32_e32 v121, v14, v121                              // 0000000098F8: 0AF2F30E
	v_mul_f32_e32 v122, v14, v122                              // 0000000098FC: 0AF4F50E
	v_mul_f32_e32 v123, v14, v123                              // 000000009900: 0AF6F70E
	v_mul_f32_dpp v120, v51, v120 row_newbcast:12 row_mask:0xf bank_mask:0xf// 000000009904: 0AF0F0FA FF015C33
	v_mul_f32_dpp v121, v51, v121 row_newbcast:13 row_mask:0xf bank_mask:0xf// 00000000990C: 0AF2F2FA FF015D33
	v_mul_f32_dpp v122, v51, v122 row_newbcast:14 row_mask:0xf bank_mask:0xf// 000000009914: 0AF4F4FA FF015E33
	v_mul_f32_dpp v123, v51, v123 row_newbcast:15 row_mask:0xf bank_mask:0xf// 00000000991C: 0AF6F6FA FF015F33
	v_mul_f32_e32 v124, v15, v124                              // 000000009924: 0AF8F90F
	v_mul_f32_e32 v125, v15, v125                              // 000000009928: 0AFAFB0F
	v_mul_f32_e32 v126, v15, v126                              // 00000000992C: 0AFCFD0F
	v_mul_f32_e32 v127, v15, v127                              // 000000009930: 0AFEFF0F
	v_mul_f32_dpp v124, v51, v124 row_newbcast:12 row_mask:0xf bank_mask:0xf// 000000009934: 0AF8F8FA FF015C33
	v_mul_f32_dpp v125, v51, v125 row_newbcast:13 row_mask:0xf bank_mask:0xf// 00000000993C: 0AFAFAFA FF015D33
	v_mul_f32_dpp v126, v51, v126 row_newbcast:14 row_mask:0xf bank_mask:0xf// 000000009944: 0AFCFCFA FF015E33
	v_mul_f32_dpp v127, v51, v127 row_newbcast:15 row_mask:0xf bank_mask:0xf// 00000000994C: 0AFEFEFA FF015F33
	s_waitcnt vmcnt(28)                                        // 000000009954: BF8C4F7C
	buffer_load_dwordx4 a[0:3], v42, s[12:15], 0 offen         // 000000009958: E05C1000 8083002A
	v_mul_f32_e64 v52, -v128, s6                               // 000000009960: D1050034 20000D80
	v_mul_f32_e64 v53, -v129, s6                               // 000000009968: D1050035 20000D81
	v_mul_f32_e64 v54, -v130, s6                               // 000000009970: D1050036 20000D82
	v_mul_f32_e64 v55, -v131, s6                               // 000000009978: D1050037 20000D83
	v_exp_f32_e32 v52, v52                                     // 000000009980: 7E684134
	v_exp_f32_e32 v53, v53                                     // 000000009984: 7E6A4135
	v_exp_f32_e32 v54, v54                                     // 000000009988: 7E6C4136
	v_exp_f32_e32 v55, v55                                     // 00000000998C: 7E6E4137
	buffer_load_dwordx4 a[4:7], v43, s[12:15], 0 offen         // 000000009990: E05C1000 8083042B
	v_add_f32_e64 v52, v52, 1.0                                // 000000009998: D1010034 0001E534
	v_add_f32_e64 v53, v53, 1.0                                // 0000000099A0: D1010035 0001E535
	v_add_f32_e64 v54, v54, 1.0                                // 0000000099A8: D1010036 0001E536
	v_add_f32_e64 v55, v55, 1.0                                // 0000000099B0: D1010037 0001E537
	v_rcp_f32_e32 v52, v52                                     // 0000000099B8: 7E684534
	v_rcp_f32_e32 v53, v53                                     // 0000000099BC: 7E6A4535
	v_rcp_f32_e32 v54, v54                                     // 0000000099C0: 7E6C4536
	v_rcp_f32_e32 v55, v55                                     // 0000000099C4: 7E6E4537
	v_mul_f32_e32 v128, v128, v52                              // 0000000099C8: 0B006980
	v_mul_f32_e32 v129, v129, v53                              // 0000000099CC: 0B026B81
	v_mul_f32_e32 v130, v130, v54                              // 0000000099D0: 0B046D82
	v_mul_f32_e32 v131, v131, v55                              // 0000000099D4: 0B066F83
	v_mul_f32_e32 v128, v128, v64                              // 0000000099D8: 0B008180
	v_mul_f32_e32 v129, v129, v65                              // 0000000099DC: 0B028381
	v_mul_f32_e32 v130, v130, v66                              // 0000000099E0: 0B048582
	v_mul_f32_e32 v131, v131, v67                              // 0000000099E4: 0B068783
	buffer_load_dwordx4 a[8:11], v44, s[12:15], 0 offen        // 0000000099E8: E05C1000 8083082C
	v_mul_f32_e64 v52, -v132, s6                               // 0000000099F0: D1050034 20000D84
	v_mul_f32_e64 v53, -v133, s6                               // 0000000099F8: D1050035 20000D85
	v_mul_f32_e64 v54, -v134, s6                               // 000000009A00: D1050036 20000D86
	v_mul_f32_e64 v55, -v135, s6                               // 000000009A08: D1050037 20000D87
	v_exp_f32_e32 v52, v52                                     // 000000009A10: 7E684134
	v_exp_f32_e32 v53, v53                                     // 000000009A14: 7E6A4135
	v_exp_f32_e32 v54, v54                                     // 000000009A18: 7E6C4136
	v_exp_f32_e32 v55, v55                                     // 000000009A1C: 7E6E4137
	buffer_load_dwordx4 a[12:15], v45, s[12:15], 0 offen       // 000000009A20: E05C1000 80830C2D
	s_add_u32 s12, s78, s12                                    // 000000009A28: 800C0C4E
	s_addc_u32 s13, 0, s13                                     // 000000009A2C: 820D0D80
	v_add_f32_e64 v52, v52, 1.0                                // 000000009A30: D1010034 0001E534
	v_add_f32_e64 v53, v53, 1.0                                // 000000009A38: D1010035 0001E535
	v_add_f32_e64 v54, v54, 1.0                                // 000000009A40: D1010036 0001E536
	v_add_f32_e64 v55, v55, 1.0                                // 000000009A48: D1010037 0001E537
	v_rcp_f32_e32 v52, v52                                     // 000000009A50: 7E684534
	v_rcp_f32_e32 v53, v53                                     // 000000009A54: 7E6A4535
	v_rcp_f32_e32 v54, v54                                     // 000000009A58: 7E6C4536
	v_rcp_f32_e32 v55, v55                                     // 000000009A5C: 7E6E4537
	v_mul_f32_e32 v132, v132, v52                              // 000000009A60: 0B086984
	v_mul_f32_e32 v133, v133, v53                              // 000000009A64: 0B0A6B85
	v_mul_f32_e32 v134, v134, v54                              // 000000009A68: 0B0C6D86
	v_mul_f32_e32 v135, v135, v55                              // 000000009A6C: 0B0E6F87
	v_mul_f32_e32 v132, v132, v68                              // 000000009A70: 0B088984
	v_mul_f32_e32 v133, v133, v69                              // 000000009A74: 0B0A8B85
	v_mul_f32_e32 v134, v134, v70                              // 000000009A78: 0B0C8D86
	v_mul_f32_e32 v135, v135, v71                              // 000000009A7C: 0B0E8F87
	s_waitcnt vmcnt(28)                                        // 000000009A80: BF8C4F7C
	buffer_load_dwordx4 a[16:19], v42, s[12:15], 0 offen       // 000000009A84: E05C1000 8083102A
	v_mul_f32_e64 v52, -v136, s6                               // 000000009A8C: D1050034 20000D88
	v_mul_f32_e64 v53, -v137, s6                               // 000000009A94: D1050035 20000D89
	v_mul_f32_e64 v54, -v138, s6                               // 000000009A9C: D1050036 20000D8A
	v_mul_f32_e64 v55, -v139, s6                               // 000000009AA4: D1050037 20000D8B
	v_exp_f32_e32 v52, v52                                     // 000000009AAC: 7E684134
	v_exp_f32_e32 v53, v53                                     // 000000009AB0: 7E6A4135
	v_exp_f32_e32 v54, v54                                     // 000000009AB4: 7E6C4136
	v_exp_f32_e32 v55, v55                                     // 000000009AB8: 7E6E4137
	buffer_load_dwordx4 a[20:23], v43, s[12:15], 0 offen       // 000000009ABC: E05C1000 8083142B
	v_add_f32_e64 v52, v52, 1.0                                // 000000009AC4: D1010034 0001E534
	v_add_f32_e64 v53, v53, 1.0                                // 000000009ACC: D1010035 0001E535
	v_add_f32_e64 v54, v54, 1.0                                // 000000009AD4: D1010036 0001E536
	v_add_f32_e64 v55, v55, 1.0                                // 000000009ADC: D1010037 0001E537
	v_rcp_f32_e32 v52, v52                                     // 000000009AE4: 7E684534
	v_rcp_f32_e32 v53, v53                                     // 000000009AE8: 7E6A4535
	v_rcp_f32_e32 v54, v54                                     // 000000009AEC: 7E6C4536
	v_rcp_f32_e32 v55, v55                                     // 000000009AF0: 7E6E4537
	v_mul_f32_e32 v136, v136, v52                              // 000000009AF4: 0B106988
	v_mul_f32_e32 v137, v137, v53                              // 000000009AF8: 0B126B89
	v_mul_f32_e32 v138, v138, v54                              // 000000009AFC: 0B146D8A
	v_mul_f32_e32 v139, v139, v55                              // 000000009B00: 0B166F8B
	v_mul_f32_e32 v136, v136, v72                              // 000000009B04: 0B109188
	v_mul_f32_e32 v137, v137, v73                              // 000000009B08: 0B129389
	v_mul_f32_e32 v138, v138, v74                              // 000000009B0C: 0B14958A
	v_mul_f32_e32 v139, v139, v75                              // 000000009B10: 0B16978B
	buffer_load_dwordx4 a[24:27], v44, s[12:15], 0 offen       // 000000009B14: E05C1000 8083182C
	v_mul_f32_e64 v52, -v140, s6                               // 000000009B1C: D1050034 20000D8C
	v_mul_f32_e64 v53, -v141, s6                               // 000000009B24: D1050035 20000D8D
	v_mul_f32_e64 v54, -v142, s6                               // 000000009B2C: D1050036 20000D8E
	v_mul_f32_e64 v55, -v143, s6                               // 000000009B34: D1050037 20000D8F
	v_exp_f32_e32 v52, v52                                     // 000000009B3C: 7E684134
	v_exp_f32_e32 v53, v53                                     // 000000009B40: 7E6A4135
	v_exp_f32_e32 v54, v54                                     // 000000009B44: 7E6C4136
	v_exp_f32_e32 v55, v55                                     // 000000009B48: 7E6E4137
	buffer_load_dwordx4 a[28:31], v45, s[12:15], 0 offen       // 000000009B4C: E05C1000 80831C2D
	s_add_u32 s12, s78, s12                                    // 000000009B54: 800C0C4E
	s_addc_u32 s13, 0, s13                                     // 000000009B58: 820D0D80
	v_add_f32_e64 v52, v52, 1.0                                // 000000009B5C: D1010034 0001E534
	v_add_f32_e64 v53, v53, 1.0                                // 000000009B64: D1010035 0001E535
	v_add_f32_e64 v54, v54, 1.0                                // 000000009B6C: D1010036 0001E536
	v_add_f32_e64 v55, v55, 1.0                                // 000000009B74: D1010037 0001E537
	v_rcp_f32_e32 v52, v52                                     // 000000009B7C: 7E684534
	v_rcp_f32_e32 v53, v53                                     // 000000009B80: 7E6A4535
	v_rcp_f32_e32 v54, v54                                     // 000000009B84: 7E6C4536
	v_rcp_f32_e32 v55, v55                                     // 000000009B88: 7E6E4537
	v_mul_f32_e32 v140, v140, v52                              // 000000009B8C: 0B18698C
	v_mul_f32_e32 v141, v141, v53                              // 000000009B90: 0B1A6B8D
	v_mul_f32_e32 v142, v142, v54                              // 000000009B94: 0B1C6D8E
	v_mul_f32_e32 v143, v143, v55                              // 000000009B98: 0B1E6F8F
	v_mul_f32_e32 v140, v140, v76                              // 000000009B9C: 0B18998C
	v_mul_f32_e32 v141, v141, v77                              // 000000009BA0: 0B1A9B8D
	v_mul_f32_e32 v142, v142, v78                              // 000000009BA4: 0B1C9D8E
	v_mul_f32_e32 v143, v143, v79                              // 000000009BA8: 0B1E9F8F
	s_waitcnt vmcnt(28)                                        // 000000009BAC: BF8C4F7C
	buffer_load_dwordx4 a[32:35], v42, s[12:15], 0 offen       // 000000009BB0: E05C1000 8083202A
	v_mul_f32_e64 v52, -v144, s6                               // 000000009BB8: D1050034 20000D90
	v_mul_f32_e64 v53, -v145, s6                               // 000000009BC0: D1050035 20000D91
	v_mul_f32_e64 v54, -v146, s6                               // 000000009BC8: D1050036 20000D92
	v_mul_f32_e64 v55, -v147, s6                               // 000000009BD0: D1050037 20000D93
	v_exp_f32_e32 v52, v52                                     // 000000009BD8: 7E684134
	v_exp_f32_e32 v53, v53                                     // 000000009BDC: 7E6A4135
	v_exp_f32_e32 v54, v54                                     // 000000009BE0: 7E6C4136
	v_exp_f32_e32 v55, v55                                     // 000000009BE4: 7E6E4137
	buffer_load_dwordx4 a[36:39], v43, s[12:15], 0 offen       // 000000009BE8: E05C1000 8083242B
	v_add_f32_e64 v52, v52, 1.0                                // 000000009BF0: D1010034 0001E534
	v_add_f32_e64 v53, v53, 1.0                                // 000000009BF8: D1010035 0001E535
	v_add_f32_e64 v54, v54, 1.0                                // 000000009C00: D1010036 0001E536
	v_add_f32_e64 v55, v55, 1.0                                // 000000009C08: D1010037 0001E537
	v_rcp_f32_e32 v52, v52                                     // 000000009C10: 7E684534
	v_rcp_f32_e32 v53, v53                                     // 000000009C14: 7E6A4535
	v_rcp_f32_e32 v54, v54                                     // 000000009C18: 7E6C4536
	v_rcp_f32_e32 v55, v55                                     // 000000009C1C: 7E6E4537
	v_mul_f32_e32 v144, v144, v52                              // 000000009C20: 0B206990
	v_mul_f32_e32 v145, v145, v53                              // 000000009C24: 0B226B91
	v_mul_f32_e32 v146, v146, v54                              // 000000009C28: 0B246D92
	v_mul_f32_e32 v147, v147, v55                              // 000000009C2C: 0B266F93
	v_mul_f32_e32 v144, v144, v80                              // 000000009C30: 0B20A190
	v_mul_f32_e32 v145, v145, v81                              // 000000009C34: 0B22A391
	v_mul_f32_e32 v146, v146, v82                              // 000000009C38: 0B24A592
	v_mul_f32_e32 v147, v147, v83                              // 000000009C3C: 0B26A793
	buffer_load_dwordx4 a[40:43], v44, s[12:15], 0 offen       // 000000009C40: E05C1000 8083282C
	v_mul_f32_e64 v52, -v148, s6                               // 000000009C48: D1050034 20000D94
	v_mul_f32_e64 v53, -v149, s6                               // 000000009C50: D1050035 20000D95
	v_mul_f32_e64 v54, -v150, s6                               // 000000009C58: D1050036 20000D96
	v_mul_f32_e64 v55, -v151, s6                               // 000000009C60: D1050037 20000D97
	v_exp_f32_e32 v52, v52                                     // 000000009C68: 7E684134
	v_exp_f32_e32 v53, v53                                     // 000000009C6C: 7E6A4135
	v_exp_f32_e32 v54, v54                                     // 000000009C70: 7E6C4136
	v_exp_f32_e32 v55, v55                                     // 000000009C74: 7E6E4137
	buffer_load_dwordx4 a[44:47], v45, s[12:15], 0 offen       // 000000009C78: E05C1000 80832C2D
	s_add_u32 s12, s78, s12                                    // 000000009C80: 800C0C4E
	s_addc_u32 s13, 0, s13                                     // 000000009C84: 820D0D80
	v_add_f32_e64 v52, v52, 1.0                                // 000000009C88: D1010034 0001E534
	v_add_f32_e64 v53, v53, 1.0                                // 000000009C90: D1010035 0001E535
	v_add_f32_e64 v54, v54, 1.0                                // 000000009C98: D1010036 0001E536
	v_add_f32_e64 v55, v55, 1.0                                // 000000009CA0: D1010037 0001E537
	v_rcp_f32_e32 v52, v52                                     // 000000009CA8: 7E684534
	v_rcp_f32_e32 v53, v53                                     // 000000009CAC: 7E6A4535
	v_rcp_f32_e32 v54, v54                                     // 000000009CB0: 7E6C4536
	v_rcp_f32_e32 v55, v55                                     // 000000009CB4: 7E6E4537
	v_mul_f32_e32 v148, v148, v52                              // 000000009CB8: 0B286994
	v_mul_f32_e32 v149, v149, v53                              // 000000009CBC: 0B2A6B95
	v_mul_f32_e32 v150, v150, v54                              // 000000009CC0: 0B2C6D96
	v_mul_f32_e32 v151, v151, v55                              // 000000009CC4: 0B2E6F97
	v_mul_f32_e32 v148, v148, v84                              // 000000009CC8: 0B28A994
	v_mul_f32_e32 v149, v149, v85                              // 000000009CCC: 0B2AAB95
	v_mul_f32_e32 v150, v150, v86                              // 000000009CD0: 0B2CAD96
	v_mul_f32_e32 v151, v151, v87                              // 000000009CD4: 0B2EAF97
	s_waitcnt vmcnt(28)                                        // 000000009CD8: BF8C4F7C
	buffer_load_dwordx4 a[48:51], v42, s[12:15], 0 offen       // 000000009CDC: E05C1000 8083302A
	v_mul_f32_e64 v52, -v152, s6                               // 000000009CE4: D1050034 20000D98
	v_mul_f32_e64 v53, -v153, s6                               // 000000009CEC: D1050035 20000D99
	v_mul_f32_e64 v54, -v154, s6                               // 000000009CF4: D1050036 20000D9A
	v_mul_f32_e64 v55, -v155, s6                               // 000000009CFC: D1050037 20000D9B
	v_exp_f32_e32 v52, v52                                     // 000000009D04: 7E684134
	v_exp_f32_e32 v53, v53                                     // 000000009D08: 7E6A4135
	v_exp_f32_e32 v54, v54                                     // 000000009D0C: 7E6C4136
	v_exp_f32_e32 v55, v55                                     // 000000009D10: 7E6E4137
	buffer_load_dwordx4 a[52:55], v43, s[12:15], 0 offen       // 000000009D14: E05C1000 8083342B
	v_add_f32_e64 v52, v52, 1.0                                // 000000009D1C: D1010034 0001E534
	v_add_f32_e64 v53, v53, 1.0                                // 000000009D24: D1010035 0001E535
	v_add_f32_e64 v54, v54, 1.0                                // 000000009D2C: D1010036 0001E536
	v_add_f32_e64 v55, v55, 1.0                                // 000000009D34: D1010037 0001E537
	v_rcp_f32_e32 v52, v52                                     // 000000009D3C: 7E684534
	v_rcp_f32_e32 v53, v53                                     // 000000009D40: 7E6A4535
	v_rcp_f32_e32 v54, v54                                     // 000000009D44: 7E6C4536
	v_rcp_f32_e32 v55, v55                                     // 000000009D48: 7E6E4537
	v_mul_f32_e32 v152, v152, v52                              // 000000009D4C: 0B306998
	v_mul_f32_e32 v153, v153, v53                              // 000000009D50: 0B326B99
	v_mul_f32_e32 v154, v154, v54                              // 000000009D54: 0B346D9A
	v_mul_f32_e32 v155, v155, v55                              // 000000009D58: 0B366F9B
	v_mul_f32_e32 v152, v152, v88                              // 000000009D5C: 0B30B198
	v_mul_f32_e32 v153, v153, v89                              // 000000009D60: 0B32B399
	v_mul_f32_e32 v154, v154, v90                              // 000000009D64: 0B34B59A
	v_mul_f32_e32 v155, v155, v91                              // 000000009D68: 0B36B79B
	buffer_load_dwordx4 a[56:59], v44, s[12:15], 0 offen       // 000000009D6C: E05C1000 8083382C
	v_mul_f32_e64 v52, -v156, s6                               // 000000009D74: D1050034 20000D9C
	v_mul_f32_e64 v53, -v157, s6                               // 000000009D7C: D1050035 20000D9D
	v_mul_f32_e64 v54, -v158, s6                               // 000000009D84: D1050036 20000D9E
	v_mul_f32_e64 v55, -v159, s6                               // 000000009D8C: D1050037 20000D9F
	v_exp_f32_e32 v52, v52                                     // 000000009D94: 7E684134
	v_exp_f32_e32 v53, v53                                     // 000000009D98: 7E6A4135
	v_exp_f32_e32 v54, v54                                     // 000000009D9C: 7E6C4136
	v_exp_f32_e32 v55, v55                                     // 000000009DA0: 7E6E4137
	buffer_load_dwordx4 a[60:63], v45, s[12:15], 0 offen       // 000000009DA4: E05C1000 80833C2D
	s_add_u32 s12, s78, s12                                    // 000000009DAC: 800C0C4E
	s_addc_u32 s13, 0, s13                                     // 000000009DB0: 820D0D80
	v_add_f32_e64 v52, v52, 1.0                                // 000000009DB4: D1010034 0001E534
	v_add_f32_e64 v53, v53, 1.0                                // 000000009DBC: D1010035 0001E535
	v_add_f32_e64 v54, v54, 1.0                                // 000000009DC4: D1010036 0001E536
	v_add_f32_e64 v55, v55, 1.0                                // 000000009DCC: D1010037 0001E537
	v_rcp_f32_e32 v52, v52                                     // 000000009DD4: 7E684534
	v_rcp_f32_e32 v53, v53                                     // 000000009DD8: 7E6A4535
	v_rcp_f32_e32 v54, v54                                     // 000000009DDC: 7E6C4536
	v_rcp_f32_e32 v55, v55                                     // 000000009DE0: 7E6E4537
	v_mul_f32_e32 v156, v156, v52                              // 000000009DE4: 0B38699C
	v_mul_f32_e32 v157, v157, v53                              // 000000009DE8: 0B3A6B9D
	v_mul_f32_e32 v158, v158, v54                              // 000000009DEC: 0B3C6D9E
	v_mul_f32_e32 v159, v159, v55                              // 000000009DF0: 0B3E6F9F
	v_mul_f32_e32 v156, v156, v92                              // 000000009DF4: 0B38B99C
	v_mul_f32_e32 v157, v157, v93                              // 000000009DF8: 0B3ABB9D
	v_mul_f32_e32 v158, v158, v94                              // 000000009DFC: 0B3CBD9E
	v_mul_f32_e32 v159, v159, v95                              // 000000009E00: 0B3EBF9F
	s_waitcnt vmcnt(28)                                        // 000000009E04: BF8C4F7C
	buffer_load_dwordx4 a[64:67], v42, s[12:15], 0 offen       // 000000009E08: E05C1000 8083402A
	v_mul_f32_e64 v52, -v160, s6                               // 000000009E10: D1050034 20000DA0
	v_mul_f32_e64 v53, -v161, s6                               // 000000009E18: D1050035 20000DA1
	v_mul_f32_e64 v54, -v162, s6                               // 000000009E20: D1050036 20000DA2
	v_mul_f32_e64 v55, -v163, s6                               // 000000009E28: D1050037 20000DA3
	v_exp_f32_e32 v52, v52                                     // 000000009E30: 7E684134
	v_exp_f32_e32 v53, v53                                     // 000000009E34: 7E6A4135
	v_exp_f32_e32 v54, v54                                     // 000000009E38: 7E6C4136
	v_exp_f32_e32 v55, v55                                     // 000000009E3C: 7E6E4137
	buffer_load_dwordx4 a[68:71], v43, s[12:15], 0 offen       // 000000009E40: E05C1000 8083442B
	v_add_f32_e64 v52, v52, 1.0                                // 000000009E48: D1010034 0001E534
	v_add_f32_e64 v53, v53, 1.0                                // 000000009E50: D1010035 0001E535
	v_add_f32_e64 v54, v54, 1.0                                // 000000009E58: D1010036 0001E536
	v_add_f32_e64 v55, v55, 1.0                                // 000000009E60: D1010037 0001E537
	v_rcp_f32_e32 v52, v52                                     // 000000009E68: 7E684534
	v_rcp_f32_e32 v53, v53                                     // 000000009E6C: 7E6A4535
	v_rcp_f32_e32 v54, v54                                     // 000000009E70: 7E6C4536
	v_rcp_f32_e32 v55, v55                                     // 000000009E74: 7E6E4537
	v_mul_f32_e32 v160, v160, v52                              // 000000009E78: 0B4069A0
	v_mul_f32_e32 v161, v161, v53                              // 000000009E7C: 0B426BA1
	v_mul_f32_e32 v162, v162, v54                              // 000000009E80: 0B446DA2
	v_mul_f32_e32 v163, v163, v55                              // 000000009E84: 0B466FA3
	v_mul_f32_e32 v160, v160, v96                              // 000000009E88: 0B40C1A0
	v_mul_f32_e32 v161, v161, v97                              // 000000009E8C: 0B42C3A1
	v_mul_f32_e32 v162, v162, v98                              // 000000009E90: 0B44C5A2
	v_mul_f32_e32 v163, v163, v99                              // 000000009E94: 0B46C7A3
	buffer_load_dwordx4 a[72:75], v44, s[12:15], 0 offen       // 000000009E98: E05C1000 8083482C
	v_mul_f32_e64 v52, -v164, s6                               // 000000009EA0: D1050034 20000DA4
	v_mul_f32_e64 v53, -v165, s6                               // 000000009EA8: D1050035 20000DA5
	v_mul_f32_e64 v54, -v166, s6                               // 000000009EB0: D1050036 20000DA6
	v_mul_f32_e64 v55, -v167, s6                               // 000000009EB8: D1050037 20000DA7
	v_exp_f32_e32 v52, v52                                     // 000000009EC0: 7E684134
	v_exp_f32_e32 v53, v53                                     // 000000009EC4: 7E6A4135
	v_exp_f32_e32 v54, v54                                     // 000000009EC8: 7E6C4136
	v_exp_f32_e32 v55, v55                                     // 000000009ECC: 7E6E4137
	buffer_load_dwordx4 a[76:79], v45, s[12:15], 0 offen       // 000000009ED0: E05C1000 80834C2D
	s_add_u32 s12, s78, s12                                    // 000000009ED8: 800C0C4E
	s_addc_u32 s13, 0, s13                                     // 000000009EDC: 820D0D80
	v_add_f32_e64 v52, v52, 1.0                                // 000000009EE0: D1010034 0001E534
	v_add_f32_e64 v53, v53, 1.0                                // 000000009EE8: D1010035 0001E535
	v_add_f32_e64 v54, v54, 1.0                                // 000000009EF0: D1010036 0001E536
	v_add_f32_e64 v55, v55, 1.0                                // 000000009EF8: D1010037 0001E537
	v_rcp_f32_e32 v52, v52                                     // 000000009F00: 7E684534
	v_rcp_f32_e32 v53, v53                                     // 000000009F04: 7E6A4535
	v_rcp_f32_e32 v54, v54                                     // 000000009F08: 7E6C4536
	v_rcp_f32_e32 v55, v55                                     // 000000009F0C: 7E6E4537
	v_mul_f32_e32 v164, v164, v52                              // 000000009F10: 0B4869A4
	v_mul_f32_e32 v165, v165, v53                              // 000000009F14: 0B4A6BA5
	v_mul_f32_e32 v166, v166, v54                              // 000000009F18: 0B4C6DA6
	v_mul_f32_e32 v167, v167, v55                              // 000000009F1C: 0B4E6FA7
	v_mul_f32_e32 v164, v164, v100                             // 000000009F20: 0B48C9A4
	v_mul_f32_e32 v165, v165, v101                             // 000000009F24: 0B4ACBA5
	v_mul_f32_e32 v166, v166, v102                             // 000000009F28: 0B4CCDA6
	v_mul_f32_e32 v167, v167, v103                             // 000000009F2C: 0B4ECFA7
	s_waitcnt vmcnt(28)                                        // 000000009F30: BF8C4F7C
	buffer_load_dwordx4 a[80:83], v42, s[12:15], 0 offen       // 000000009F34: E05C1000 8083502A
	v_mul_f32_e64 v52, -v168, s6                               // 000000009F3C: D1050034 20000DA8
	v_mul_f32_e64 v53, -v169, s6                               // 000000009F44: D1050035 20000DA9
	v_mul_f32_e64 v54, -v170, s6                               // 000000009F4C: D1050036 20000DAA
	v_mul_f32_e64 v55, -v171, s6                               // 000000009F54: D1050037 20000DAB
	v_exp_f32_e32 v52, v52                                     // 000000009F5C: 7E684134
	v_exp_f32_e32 v53, v53                                     // 000000009F60: 7E6A4135
	v_exp_f32_e32 v54, v54                                     // 000000009F64: 7E6C4136
	v_exp_f32_e32 v55, v55                                     // 000000009F68: 7E6E4137
	buffer_load_dwordx4 a[84:87], v43, s[12:15], 0 offen       // 000000009F6C: E05C1000 8083542B
	v_add_f32_e64 v52, v52, 1.0                                // 000000009F74: D1010034 0001E534
	v_add_f32_e64 v53, v53, 1.0                                // 000000009F7C: D1010035 0001E535
	v_add_f32_e64 v54, v54, 1.0                                // 000000009F84: D1010036 0001E536
	v_add_f32_e64 v55, v55, 1.0                                // 000000009F8C: D1010037 0001E537
	v_rcp_f32_e32 v52, v52                                     // 000000009F94: 7E684534
	v_rcp_f32_e32 v53, v53                                     // 000000009F98: 7E6A4535
	v_rcp_f32_e32 v54, v54                                     // 000000009F9C: 7E6C4536
	v_rcp_f32_e32 v55, v55                                     // 000000009FA0: 7E6E4537
	v_mul_f32_e32 v168, v168, v52                              // 000000009FA4: 0B5069A8
	v_mul_f32_e32 v169, v169, v53                              // 000000009FA8: 0B526BA9
	v_mul_f32_e32 v170, v170, v54                              // 000000009FAC: 0B546DAA
	v_mul_f32_e32 v171, v171, v55                              // 000000009FB0: 0B566FAB
	v_mul_f32_e32 v168, v168, v104                             // 000000009FB4: 0B50D1A8
	v_mul_f32_e32 v169, v169, v105                             // 000000009FB8: 0B52D3A9
	v_mul_f32_e32 v170, v170, v106                             // 000000009FBC: 0B54D5AA
	v_mul_f32_e32 v171, v171, v107                             // 000000009FC0: 0B56D7AB
	buffer_load_dwordx4 a[88:91], v44, s[12:15], 0 offen       // 000000009FC4: E05C1000 8083582C
	v_mul_f32_e64 v52, -v172, s6                               // 000000009FCC: D1050034 20000DAC
	v_mul_f32_e64 v53, -v173, s6                               // 000000009FD4: D1050035 20000DAD
	v_mul_f32_e64 v54, -v174, s6                               // 000000009FDC: D1050036 20000DAE
	v_mul_f32_e64 v55, -v175, s6                               // 000000009FE4: D1050037 20000DAF
	v_exp_f32_e32 v52, v52                                     // 000000009FEC: 7E684134
	v_exp_f32_e32 v53, v53                                     // 000000009FF0: 7E6A4135
	v_exp_f32_e32 v54, v54                                     // 000000009FF4: 7E6C4136
	v_exp_f32_e32 v55, v55                                     // 000000009FF8: 7E6E4137
	buffer_load_dwordx4 a[92:95], v45, s[12:15], 0 offen       // 000000009FFC: E05C1000 80835C2D
	s_add_u32 s12, s78, s12                                    // 00000000A004: 800C0C4E
	s_addc_u32 s13, 0, s13                                     // 00000000A008: 820D0D80
	v_add_f32_e64 v52, v52, 1.0                                // 00000000A00C: D1010034 0001E534
	v_add_f32_e64 v53, v53, 1.0                                // 00000000A014: D1010035 0001E535
	v_add_f32_e64 v54, v54, 1.0                                // 00000000A01C: D1010036 0001E536
	v_add_f32_e64 v55, v55, 1.0                                // 00000000A024: D1010037 0001E537
	v_rcp_f32_e32 v52, v52                                     // 00000000A02C: 7E684534
	v_rcp_f32_e32 v53, v53                                     // 00000000A030: 7E6A4535
	v_rcp_f32_e32 v54, v54                                     // 00000000A034: 7E6C4536
	v_rcp_f32_e32 v55, v55                                     // 00000000A038: 7E6E4537
	v_mul_f32_e32 v172, v172, v52                              // 00000000A03C: 0B5869AC
	v_mul_f32_e32 v173, v173, v53                              // 00000000A040: 0B5A6BAD
	v_mul_f32_e32 v174, v174, v54                              // 00000000A044: 0B5C6DAE
	v_mul_f32_e32 v175, v175, v55                              // 00000000A048: 0B5E6FAF
	v_mul_f32_e32 v172, v172, v108                             // 00000000A04C: 0B58D9AC
	v_mul_f32_e32 v173, v173, v109                             // 00000000A050: 0B5ADBAD
	v_mul_f32_e32 v174, v174, v110                             // 00000000A054: 0B5CDDAE
	v_mul_f32_e32 v175, v175, v111                             // 00000000A058: 0B5EDFAF
	s_waitcnt vmcnt(28)                                        // 00000000A05C: BF8C4F7C
	buffer_load_dwordx4 a[96:99], v42, s[12:15], 0 offen       // 00000000A060: E05C1000 8083602A
	v_mul_f32_e64 v52, -v176, s6                               // 00000000A068: D1050034 20000DB0
	v_mul_f32_e64 v53, -v177, s6                               // 00000000A070: D1050035 20000DB1
	v_mul_f32_e64 v54, -v178, s6                               // 00000000A078: D1050036 20000DB2
	v_mul_f32_e64 v55, -v179, s6                               // 00000000A080: D1050037 20000DB3
	v_exp_f32_e32 v52, v52                                     // 00000000A088: 7E684134
	v_exp_f32_e32 v53, v53                                     // 00000000A08C: 7E6A4135
	v_exp_f32_e32 v54, v54                                     // 00000000A090: 7E6C4136
	v_exp_f32_e32 v55, v55                                     // 00000000A094: 7E6E4137
	buffer_load_dwordx4 a[100:103], v43, s[12:15], 0 offen     // 00000000A098: E05C1000 8083642B
	v_add_f32_e64 v52, v52, 1.0                                // 00000000A0A0: D1010034 0001E534
	v_add_f32_e64 v53, v53, 1.0                                // 00000000A0A8: D1010035 0001E535
	v_add_f32_e64 v54, v54, 1.0                                // 00000000A0B0: D1010036 0001E536
	v_add_f32_e64 v55, v55, 1.0                                // 00000000A0B8: D1010037 0001E537
	v_rcp_f32_e32 v52, v52                                     // 00000000A0C0: 7E684534
	v_rcp_f32_e32 v53, v53                                     // 00000000A0C4: 7E6A4535
	v_rcp_f32_e32 v54, v54                                     // 00000000A0C8: 7E6C4536
	v_rcp_f32_e32 v55, v55                                     // 00000000A0CC: 7E6E4537
	v_mul_f32_e32 v176, v176, v52                              // 00000000A0D0: 0B6069B0
	v_mul_f32_e32 v177, v177, v53                              // 00000000A0D4: 0B626BB1
	v_mul_f32_e32 v178, v178, v54                              // 00000000A0D8: 0B646DB2
	v_mul_f32_e32 v179, v179, v55                              // 00000000A0DC: 0B666FB3
	v_mul_f32_e32 v176, v176, v112                             // 00000000A0E0: 0B60E1B0
	v_mul_f32_e32 v177, v177, v113                             // 00000000A0E4: 0B62E3B1
	v_mul_f32_e32 v178, v178, v114                             // 00000000A0E8: 0B64E5B2
	v_mul_f32_e32 v179, v179, v115                             // 00000000A0EC: 0B66E7B3
	buffer_load_dwordx4 a[104:107], v44, s[12:15], 0 offen     // 00000000A0F0: E05C1000 8083682C
	v_mul_f32_e64 v52, -v180, s6                               // 00000000A0F8: D1050034 20000DB4
	v_mul_f32_e64 v53, -v181, s6                               // 00000000A100: D1050035 20000DB5
	v_mul_f32_e64 v54, -v182, s6                               // 00000000A108: D1050036 20000DB6
	v_mul_f32_e64 v55, -v183, s6                               // 00000000A110: D1050037 20000DB7
	v_exp_f32_e32 v52, v52                                     // 00000000A118: 7E684134
	v_exp_f32_e32 v53, v53                                     // 00000000A11C: 7E6A4135
	v_exp_f32_e32 v54, v54                                     // 00000000A120: 7E6C4136
	v_exp_f32_e32 v55, v55                                     // 00000000A124: 7E6E4137
	buffer_load_dwordx4 a[108:111], v45, s[12:15], 0 offen     // 00000000A128: E05C1000 80836C2D
	s_add_u32 s12, s78, s12                                    // 00000000A130: 800C0C4E
	s_addc_u32 s13, 0, s13                                     // 00000000A134: 820D0D80
	v_add_f32_e64 v52, v52, 1.0                                // 00000000A138: D1010034 0001E534
	v_add_f32_e64 v53, v53, 1.0                                // 00000000A140: D1010035 0001E535
	v_add_f32_e64 v54, v54, 1.0                                // 00000000A148: D1010036 0001E536
	v_add_f32_e64 v55, v55, 1.0                                // 00000000A150: D1010037 0001E537
	v_rcp_f32_e32 v52, v52                                     // 00000000A158: 7E684534
	v_rcp_f32_e32 v53, v53                                     // 00000000A15C: 7E6A4535
	v_rcp_f32_e32 v54, v54                                     // 00000000A160: 7E6C4536
	v_rcp_f32_e32 v55, v55                                     // 00000000A164: 7E6E4537
	v_mul_f32_e32 v180, v180, v52                              // 00000000A168: 0B6869B4
	v_mul_f32_e32 v181, v181, v53                              // 00000000A16C: 0B6A6BB5
	v_mul_f32_e32 v182, v182, v54                              // 00000000A170: 0B6C6DB6
	v_mul_f32_e32 v183, v183, v55                              // 00000000A174: 0B6E6FB7
	v_mul_f32_e32 v180, v180, v116                             // 00000000A178: 0B68E9B4
	v_mul_f32_e32 v181, v181, v117                             // 00000000A17C: 0B6AEBB5
	v_mul_f32_e32 v182, v182, v118                             // 00000000A180: 0B6CEDB6
	v_mul_f32_e32 v183, v183, v119                             // 00000000A184: 0B6EEFB7
	s_waitcnt vmcnt(28)                                        // 00000000A188: BF8C4F7C
	buffer_load_dwordx4 a[112:115], v42, s[12:15], 0 offen     // 00000000A18C: E05C1000 8083702A
	v_mul_f32_e64 v52, -v184, s6                               // 00000000A194: D1050034 20000DB8
	v_mul_f32_e64 v53, -v185, s6                               // 00000000A19C: D1050035 20000DB9
	v_mul_f32_e64 v54, -v186, s6                               // 00000000A1A4: D1050036 20000DBA
	v_mul_f32_e64 v55, -v187, s6                               // 00000000A1AC: D1050037 20000DBB
	v_exp_f32_e32 v52, v52                                     // 00000000A1B4: 7E684134
	v_exp_f32_e32 v53, v53                                     // 00000000A1B8: 7E6A4135
	v_exp_f32_e32 v54, v54                                     // 00000000A1BC: 7E6C4136
	v_exp_f32_e32 v55, v55                                     // 00000000A1C0: 7E6E4137
	buffer_load_dwordx4 a[116:119], v43, s[12:15], 0 offen     // 00000000A1C4: E05C1000 8083742B
	v_add_f32_e64 v52, v52, 1.0                                // 00000000A1CC: D1010034 0001E534
	v_add_f32_e64 v53, v53, 1.0                                // 00000000A1D4: D1010035 0001E535
	v_add_f32_e64 v54, v54, 1.0                                // 00000000A1DC: D1010036 0001E536
	v_add_f32_e64 v55, v55, 1.0                                // 00000000A1E4: D1010037 0001E537
	v_rcp_f32_e32 v52, v52                                     // 00000000A1EC: 7E684534
	v_rcp_f32_e32 v53, v53                                     // 00000000A1F0: 7E6A4535
	v_rcp_f32_e32 v54, v54                                     // 00000000A1F4: 7E6C4536
	v_rcp_f32_e32 v55, v55                                     // 00000000A1F8: 7E6E4537
	v_mul_f32_e32 v184, v184, v52                              // 00000000A1FC: 0B7069B8
	v_mul_f32_e32 v185, v185, v53                              // 00000000A200: 0B726BB9
	v_mul_f32_e32 v186, v186, v54                              // 00000000A204: 0B746DBA
	v_mul_f32_e32 v187, v187, v55                              // 00000000A208: 0B766FBB
	v_mul_f32_e32 v184, v184, v120                             // 00000000A20C: 0B70F1B8
	v_mul_f32_e32 v185, v185, v121                             // 00000000A210: 0B72F3B9
	v_mul_f32_e32 v186, v186, v122                             // 00000000A214: 0B74F5BA
	v_mul_f32_e32 v187, v187, v123                             // 00000000A218: 0B76F7BB
	buffer_load_dwordx4 a[120:123], v44, s[12:15], 0 offen     // 00000000A21C: E05C1000 8083782C
	v_mul_f32_e64 v52, -v188, s6                               // 00000000A224: D1050034 20000DBC
	v_mul_f32_e64 v53, -v189, s6                               // 00000000A22C: D1050035 20000DBD
	v_mul_f32_e64 v54, -v190, s6                               // 00000000A234: D1050036 20000DBE
	v_mul_f32_e64 v55, -v191, s6                               // 00000000A23C: D1050037 20000DBF
	v_exp_f32_e32 v52, v52                                     // 00000000A244: 7E684134
	v_exp_f32_e32 v53, v53                                     // 00000000A248: 7E6A4135
	v_exp_f32_e32 v54, v54                                     // 00000000A24C: 7E6C4136
	v_exp_f32_e32 v55, v55                                     // 00000000A250: 7E6E4137
	buffer_load_dwordx4 a[124:127], v45, s[12:15], 0 offen     // 00000000A254: E05C1000 80837C2D
	v_add_f32_e64 v52, v52, 1.0                                // 00000000A25C: D1010034 0001E534
	v_add_f32_e64 v53, v53, 1.0                                // 00000000A264: D1010035 0001E535
	v_add_f32_e64 v54, v54, 1.0                                // 00000000A26C: D1010036 0001E536
	v_add_f32_e64 v55, v55, 1.0                                // 00000000A274: D1010037 0001E537
	v_rcp_f32_e32 v52, v52                                     // 00000000A27C: 7E684534
	v_rcp_f32_e32 v53, v53                                     // 00000000A280: 7E6A4535
	v_rcp_f32_e32 v54, v54                                     // 00000000A284: 7E6C4536
	v_rcp_f32_e32 v55, v55                                     // 00000000A288: 7E6E4537
	v_mul_f32_e32 v188, v188, v52                              // 00000000A28C: 0B7869BC
	v_mul_f32_e32 v189, v189, v53                              // 00000000A290: 0B7A6BBD
	v_mul_f32_e32 v190, v190, v54                              // 00000000A294: 0B7C6DBE
	v_mul_f32_e32 v191, v191, v55                              // 00000000A298: 0B7E6FBF
	v_mul_f32_e32 v188, v188, v124                             // 00000000A29C: 0B78F9BC
	v_mul_f32_e32 v189, v189, v125                             // 00000000A2A0: 0B7AFBBD
	v_mul_f32_e32 v190, v190, v126                             // 00000000A2A4: 0B7CFDBE
	v_mul_f32_e32 v191, v191, v127                             // 00000000A2A8: 0B7EFFBF
	v_lshlrev_b32_e32 v52, 2, v0                               // 00000000A2AC: 24680082
	s_mul_i32 s60, s82, s71                                    // 00000000A2B0: 923C4752
	v_add_u32_e64 v80, v52, s60                                // 00000000A2B4: D1340050 00007934
	v_mov_b32_e32 v81, 0                                       // 00000000A2BC: 7EA20280
	s_mul_i32 s60, s83, s71                                    // 00000000A2C0: 923C4753
	v_add_u32_e64 v82, v52, s60                                // 00000000A2C4: D1340052 00007934
	v_mov_b32_e32 v83, 0                                       // 00000000A2CC: 7EA60280
	s_mul_i32 s60, s84, s71                                    // 00000000A2D0: 923C4754
	v_add_u32_e64 v84, v52, s60                                // 00000000A2D4: D1340054 00007934
	v_mov_b32_e32 v85, 0                                       // 00000000A2DC: 7EAA0280
	s_mul_i32 s60, s85, s71                                    // 00000000A2E0: 923C4755
	v_add_u32_e64 v86, v52, s60                                // 00000000A2E4: D1340056 00007934
	v_mov_b32_e32 v87, 0                                       // 00000000A2EC: 7EAE0280
	s_mul_i32 s60, s86, s71                                    // 00000000A2F0: 923C4756
	v_add_u32_e64 v88, v52, s60                                // 00000000A2F4: D1340058 00007934
	v_mov_b32_e32 v89, 0                                       // 00000000A2FC: 7EB20280
	s_mul_i32 s60, s87, s71                                    // 00000000A300: 923C4757
	v_add_u32_e64 v90, v52, s60                                // 00000000A304: D134005A 00007934
	v_mov_b32_e32 v91, 0                                       // 00000000A30C: 7EB60280
	s_mul_i32 s60, s88, s71                                    // 00000000A310: 923C4758
	v_add_u32_e64 v92, v52, s60                                // 00000000A314: D134005C 00007934
	v_mov_b32_e32 v93, 0                                       // 00000000A31C: 7EBA0280
	s_mul_i32 s60, s89, s71                                    // 00000000A320: 923C4759
	v_add_u32_e64 v94, v52, s60                                // 00000000A324: D134005E 00007934
	v_mov_b32_e32 v95, 0                                       // 00000000A32C: 7EBE0280
	buffer_load_dword v12, v5, s[16:19], 0 offen               // 00000000A330: E0501000 80040C05
	v_mov_b32_e32 v22, 0x358637bd                              // 00000000A338: 7E2C02FF 358637BD
	v_mov_b32_e32 v23, 0x358637bd                              // 00000000A340: 7E2E02FF 358637BD
	v_max3_f32 v22, |v128|, |v129|, v22                        // 00000000A348: D1D30316 045B0380
	v_max3_f32 v22, |v130|, |v131|, v22                        // 00000000A350: D1D30316 045B0782
	v_max3_f32 v23, |v132|, |v133|, v23                        // 00000000A358: D1D30317 045F0B84
	v_max3_f32 v23, |v134|, |v135|, v23                        // 00000000A360: D1D30317 045F0F86
	v_max3_f32 v22, |v136|, |v137|, v22                        // 00000000A368: D1D30316 045B1388
	v_max3_f32 v22, |v138|, |v139|, v22                        // 00000000A370: D1D30316 045B178A
	v_max3_f32 v23, |v140|, |v141|, v23                        // 00000000A378: D1D30317 045F1B8C
	v_max3_f32 v23, |v142|, |v143|, v23                        // 00000000A380: D1D30317 045F1F8E
	v_max3_f32 v22, |v144|, |v145|, v22                        // 00000000A388: D1D30316 045B2390
	v_max3_f32 v22, |v146|, |v147|, v22                        // 00000000A390: D1D30316 045B2792
	v_max3_f32 v23, |v148|, |v149|, v23                        // 00000000A398: D1D30317 045F2B94
	v_max3_f32 v23, |v150|, |v151|, v23                        // 00000000A3A0: D1D30317 045F2F96
	v_max3_f32 v22, |v152|, |v153|, v22                        // 00000000A3A8: D1D30316 045B3398
	v_max3_f32 v22, |v154|, |v155|, v22                        // 00000000A3B0: D1D30316 045B379A
	v_max3_f32 v23, |v156|, |v157|, v23                        // 00000000A3B8: D1D30317 045F3B9C
	v_max3_f32 v23, |v158|, |v159|, v23                        // 00000000A3C0: D1D30317 045F3F9E
	v_max3_f32 v22, |v160|, |v161|, v22                        // 00000000A3C8: D1D30316 045B43A0
	v_max3_f32 v22, |v162|, |v163|, v22                        // 00000000A3D0: D1D30316 045B47A2
	v_max3_f32 v23, |v164|, |v165|, v23                        // 00000000A3D8: D1D30317 045F4BA4
	v_max3_f32 v23, |v166|, |v167|, v23                        // 00000000A3E0: D1D30317 045F4FA6
	v_max3_f32 v22, |v168|, |v169|, v22                        // 00000000A3E8: D1D30316 045B53A8
	v_max3_f32 v22, |v170|, |v171|, v22                        // 00000000A3F0: D1D30316 045B57AA
	v_max3_f32 v23, |v172|, |v173|, v23                        // 00000000A3F8: D1D30317 045F5BAC
	v_max3_f32 v23, |v174|, |v175|, v23                        // 00000000A400: D1D30317 045F5FAE
	v_max3_f32 v22, |v176|, |v177|, v22                        // 00000000A408: D1D30316 045B63B0
	v_max3_f32 v22, |v178|, |v179|, v22                        // 00000000A410: D1D30316 045B67B2
	v_max3_f32 v23, |v180|, |v181|, v23                        // 00000000A418: D1D30317 045F6BB4
	v_max3_f32 v23, |v182|, |v183|, v23                        // 00000000A420: D1D30317 045F6FB6
	v_max3_f32 v22, |v184|, |v185|, v22                        // 00000000A428: D1D30316 045B73B8
	v_max3_f32 v22, |v186|, |v187|, v22                        // 00000000A430: D1D30316 045B77BA
	v_max3_f32 v23, |v188|, |v189|, v23                        // 00000000A438: D1D30317 045F7BBC
	v_max3_f32 v23, |v190|, |v191|, v23                        // 00000000A440: D1D30317 045F7FBE
	v_lshlrev_b32_e32 v52, 3, v0                               // 00000000A448: 24680083
	s_mul_i32 s60, 0x200, s7                                   // 00000000A44C: 923C07FF 00000200
	v_add_u32_e32 v52, s60, v52                                // 00000000A454: 6868683C
	ds_write_b64 v52, v[22:23] offset:16640                    // 00000000A458: D89A4100 00001634
	s_waitcnt lgkmcnt(0)                                       // 00000000A460: BF8CC07F
	s_barrier                                                  // 00000000A464: BF8A0000
	v_and_b32_e32 v52, 15, v0                                  // 00000000A468: 2668008F
	v_lshlrev_b32_e32 v52, 3, v52                              // 00000000A46C: 24686883
	ds_read_b64 v[96:97], v52 offset:16640                     // 00000000A470: D8EC4100 60000034
	ds_read_b64 v[98:99], v52 offset:16768                     // 00000000A478: D8EC4180 62000034
	ds_read_b64 v[100:101], v52 offset:16896                   // 00000000A480: D8EC4200 64000034
	ds_read_b64 v[102:103], v52 offset:17024                   // 00000000A488: D8EC4280 66000034
	ds_read_b64 v[104:105], v52 offset:17152                   // 00000000A490: D8EC4300 68000034
	ds_read_b64 v[106:107], v52 offset:17280                   // 00000000A498: D8EC4380 6A000034
	ds_read_b64 v[108:109], v52 offset:17408                   // 00000000A4A0: D8EC4400 6C000034
	ds_read_b64 v[110:111], v52 offset:17536                   // 00000000A4A8: D8EC4480 6E000034
	ds_read_b64 v[112:113], v52 offset:17664                   // 00000000A4B0: D8EC4500 70000034
	ds_read_b64 v[114:115], v52 offset:17792                   // 00000000A4B8: D8EC4580 72000034
	ds_read_b64 v[116:117], v52 offset:17920                   // 00000000A4C0: D8EC4600 74000034
	ds_read_b64 v[118:119], v52 offset:18048                   // 00000000A4C8: D8EC4680 76000034
	ds_read_b64 v[120:121], v52 offset:18176                   // 00000000A4D0: D8EC4700 78000034
	ds_read_b64 v[122:123], v52 offset:18304                   // 00000000A4D8: D8EC4780 7A000034
	ds_read_b64 v[124:125], v52 offset:18432                   // 00000000A4E0: D8EC4800 7C000034
	ds_read_b64 v[126:127], v52 offset:18560                   // 00000000A4E8: D8EC4880 7E000034
	s_waitcnt lgkmcnt(0)                                       // 00000000A4F0: BF8CC07F
	v_max3_f32 v22, |v96|, |v98|, v22                          // 00000000A4F4: D1D30316 045AC560
	v_max3_f32 v23, |v97|, |v99|, v23                          // 00000000A4FC: D1D30317 045EC761
	v_max3_f32 v22, |v100|, |v102|, v22                        // 00000000A504: D1D30316 045ACD64
	v_max3_f32 v23, |v101|, |v103|, v23                        // 00000000A50C: D1D30317 045ECF65
	v_max3_f32 v22, |v104|, |v106|, v22                        // 00000000A514: D1D30316 045AD568
	v_max3_f32 v23, |v105|, |v107|, v23                        // 00000000A51C: D1D30317 045ED769
	v_max3_f32 v22, |v108|, |v110|, v22                        // 00000000A524: D1D30316 045ADD6C
	v_max3_f32 v23, |v109|, |v111|, v23                        // 00000000A52C: D1D30317 045EDF6D
	v_max3_f32 v22, |v112|, |v114|, v22                        // 00000000A534: D1D30316 045AE570
	v_max3_f32 v23, |v113|, |v115|, v23                        // 00000000A53C: D1D30317 045EE771
	v_max3_f32 v22, |v116|, |v118|, v22                        // 00000000A544: D1D30316 045AED74
	v_max3_f32 v23, |v117|, |v119|, v23                        // 00000000A54C: D1D30317 045EEF75
	v_max3_f32 v22, |v120|, |v122|, v22                        // 00000000A554: D1D30316 045AF578
	v_max3_f32 v23, |v121|, |v123|, v23                        // 00000000A55C: D1D30317 045EF779
	v_max3_f32 v22, |v124|, |v126|, v22                        // 00000000A564: D1D30316 045AFD7C
	v_max3_f32 v23, |v125|, |v127|, v23                        // 00000000A56C: D1D30317 045EFF7D
	v_rcp_f32_e32 v22, v22                                     // 00000000A574: 7E2C4516
	v_rcp_f32_e32 v23, v23                                     // 00000000A578: 7E2E4517
	v_mov_b32_e32 v52, 0x43700000                              // 00000000A57C: 7E6802FF 43700000
	v_mul_f32_e32 v22, v52, v22                                // 00000000A584: 0A2C2D34
	v_mul_f32_e32 v23, v52, v23                                // 00000000A588: 0A2E2F34
	v_mul_f32_e32 v128, v22, v128                              // 00000000A58C: 0B010116
	v_mul_f32_e32 v129, v22, v129                              // 00000000A590: 0B030316
	v_mul_f32_e32 v130, v22, v130                              // 00000000A594: 0B050516
	v_mul_f32_e32 v131, v22, v131                              // 00000000A598: 0B070716
	v_cvt_pk_fp8_f32 v128, v128, v129                          // 00000000A59C: D2A20080 00030380
	v_cvt_pk_fp8_f32 v128, v130, v131 op_sel:[0,0,1]           // 00000000A5A4: D2A24080 00030782
	v_mul_f32_e32 v132, v23, v132                              // 00000000A5AC: 0B090917
	v_mul_f32_e32 v133, v23, v133                              // 00000000A5B0: 0B0B0B17
	v_mul_f32_e32 v134, v23, v134                              // 00000000A5B4: 0B0D0D17
	v_mul_f32_e32 v135, v23, v135                              // 00000000A5B8: 0B0F0F17
	v_cvt_pk_fp8_f32 v129, v132, v133                          // 00000000A5BC: D2A20081 00030B84
	v_cvt_pk_fp8_f32 v129, v134, v135 op_sel:[0,0,1]           // 00000000A5C4: D2A24081 00030F86
	v_mul_f32_e32 v136, v22, v136                              // 00000000A5CC: 0B111116
	v_mul_f32_e32 v137, v22, v137                              // 00000000A5D0: 0B131316
	v_mul_f32_e32 v138, v22, v138                              // 00000000A5D4: 0B151516
	v_mul_f32_e32 v139, v22, v139                              // 00000000A5D8: 0B171716
	v_cvt_pk_fp8_f32 v130, v136, v137                          // 00000000A5DC: D2A20082 00031388
	v_cvt_pk_fp8_f32 v130, v138, v139 op_sel:[0,0,1]           // 00000000A5E4: D2A24082 0003178A
	v_mul_f32_e32 v140, v23, v140                              // 00000000A5EC: 0B191917
	v_mul_f32_e32 v141, v23, v141                              // 00000000A5F0: 0B1B1B17
	v_mul_f32_e32 v142, v23, v142                              // 00000000A5F4: 0B1D1D17
	v_mul_f32_e32 v143, v23, v143                              // 00000000A5F8: 0B1F1F17
	v_cvt_pk_fp8_f32 v131, v140, v141                          // 00000000A5FC: D2A20083 00031B8C
	v_cvt_pk_fp8_f32 v131, v142, v143 op_sel:[0,0,1]           // 00000000A604: D2A24083 00031F8E
	v_mul_f32_e32 v144, v22, v144                              // 00000000A60C: 0B212116
	v_mul_f32_e32 v145, v22, v145                              // 00000000A610: 0B232316
	v_mul_f32_e32 v146, v22, v146                              // 00000000A614: 0B252516
	v_mul_f32_e32 v147, v22, v147                              // 00000000A618: 0B272716
	v_cvt_pk_fp8_f32 v132, v144, v145                          // 00000000A61C: D2A20084 00032390
	v_cvt_pk_fp8_f32 v132, v146, v147 op_sel:[0,0,1]           // 00000000A624: D2A24084 00032792
	v_mul_f32_e32 v148, v23, v148                              // 00000000A62C: 0B292917
	v_mul_f32_e32 v149, v23, v149                              // 00000000A630: 0B2B2B17
	v_mul_f32_e32 v150, v23, v150                              // 00000000A634: 0B2D2D17
	v_mul_f32_e32 v151, v23, v151                              // 00000000A638: 0B2F2F17
	v_cvt_pk_fp8_f32 v133, v148, v149                          // 00000000A63C: D2A20085 00032B94
	v_cvt_pk_fp8_f32 v133, v150, v151 op_sel:[0,0,1]           // 00000000A644: D2A24085 00032F96
	v_mul_f32_e32 v152, v22, v152                              // 00000000A64C: 0B313116
	v_mul_f32_e32 v153, v22, v153                              // 00000000A650: 0B333316
	v_mul_f32_e32 v154, v22, v154                              // 00000000A654: 0B353516
	v_mul_f32_e32 v155, v22, v155                              // 00000000A658: 0B373716
	v_cvt_pk_fp8_f32 v134, v152, v153                          // 00000000A65C: D2A20086 00033398
	v_cvt_pk_fp8_f32 v134, v154, v155 op_sel:[0,0,1]           // 00000000A664: D2A24086 0003379A
	v_mul_f32_e32 v156, v23, v156                              // 00000000A66C: 0B393917
	v_mul_f32_e32 v157, v23, v157                              // 00000000A670: 0B3B3B17
	v_mul_f32_e32 v158, v23, v158                              // 00000000A674: 0B3D3D17
	v_mul_f32_e32 v159, v23, v159                              // 00000000A678: 0B3F3F17
	v_cvt_pk_fp8_f32 v135, v156, v157                          // 00000000A67C: D2A20087 00033B9C
	v_cvt_pk_fp8_f32 v135, v158, v159 op_sel:[0,0,1]           // 00000000A684: D2A24087 00033F9E
	v_mul_f32_e32 v160, v22, v160                              // 00000000A68C: 0B414116
	v_mul_f32_e32 v161, v22, v161                              // 00000000A690: 0B434316
	v_mul_f32_e32 v162, v22, v162                              // 00000000A694: 0B454516
	v_mul_f32_e32 v163, v22, v163                              // 00000000A698: 0B474716
	v_cvt_pk_fp8_f32 v136, v160, v161                          // 00000000A69C: D2A20088 000343A0
	v_cvt_pk_fp8_f32 v136, v162, v163 op_sel:[0,0,1]           // 00000000A6A4: D2A24088 000347A2
	v_mul_f32_e32 v164, v23, v164                              // 00000000A6AC: 0B494917
	v_mul_f32_e32 v165, v23, v165                              // 00000000A6B0: 0B4B4B17
	v_mul_f32_e32 v166, v23, v166                              // 00000000A6B4: 0B4D4D17
	v_mul_f32_e32 v167, v23, v167                              // 00000000A6B8: 0B4F4F17
	v_cvt_pk_fp8_f32 v137, v164, v165                          // 00000000A6BC: D2A20089 00034BA4
	v_cvt_pk_fp8_f32 v137, v166, v167 op_sel:[0,0,1]           // 00000000A6C4: D2A24089 00034FA6
	v_mul_f32_e32 v168, v22, v168                              // 00000000A6CC: 0B515116
	v_mul_f32_e32 v169, v22, v169                              // 00000000A6D0: 0B535316
	v_mul_f32_e32 v170, v22, v170                              // 00000000A6D4: 0B555516
	v_mul_f32_e32 v171, v22, v171                              // 00000000A6D8: 0B575716
	v_cvt_pk_fp8_f32 v138, v168, v169                          // 00000000A6DC: D2A2008A 000353A8
	v_cvt_pk_fp8_f32 v138, v170, v171 op_sel:[0,0,1]           // 00000000A6E4: D2A2408A 000357AA
	v_mul_f32_e32 v172, v23, v172                              // 00000000A6EC: 0B595917
	v_mul_f32_e32 v173, v23, v173                              // 00000000A6F0: 0B5B5B17
	v_mul_f32_e32 v174, v23, v174                              // 00000000A6F4: 0B5D5D17
	v_mul_f32_e32 v175, v23, v175                              // 00000000A6F8: 0B5F5F17
	v_cvt_pk_fp8_f32 v139, v172, v173                          // 00000000A6FC: D2A2008B 00035BAC
	v_cvt_pk_fp8_f32 v139, v174, v175 op_sel:[0,0,1]           // 00000000A704: D2A2408B 00035FAE
	v_mul_f32_e32 v176, v22, v176                              // 00000000A70C: 0B616116
	v_mul_f32_e32 v177, v22, v177                              // 00000000A710: 0B636316
	v_mul_f32_e32 v178, v22, v178                              // 00000000A714: 0B656516
	v_mul_f32_e32 v179, v22, v179                              // 00000000A718: 0B676716
	v_cvt_pk_fp8_f32 v140, v176, v177                          // 00000000A71C: D2A2008C 000363B0
	v_cvt_pk_fp8_f32 v140, v178, v179 op_sel:[0,0,1]           // 00000000A724: D2A2408C 000367B2
	v_mul_f32_e32 v180, v23, v180                              // 00000000A72C: 0B696917
	v_mul_f32_e32 v181, v23, v181                              // 00000000A730: 0B6B6B17
	v_mul_f32_e32 v182, v23, v182                              // 00000000A734: 0B6D6D17
	v_mul_f32_e32 v183, v23, v183                              // 00000000A738: 0B6F6F17
	v_cvt_pk_fp8_f32 v141, v180, v181                          // 00000000A73C: D2A2008D 00036BB4
	v_cvt_pk_fp8_f32 v141, v182, v183 op_sel:[0,0,1]           // 00000000A744: D2A2408D 00036FB6
	v_mul_f32_e32 v184, v22, v184                              // 00000000A74C: 0B717116
	v_mul_f32_e32 v185, v22, v185                              // 00000000A750: 0B737316
	v_mul_f32_e32 v186, v22, v186                              // 00000000A754: 0B757516
	v_mul_f32_e32 v187, v22, v187                              // 00000000A758: 0B777716
	v_cvt_pk_fp8_f32 v142, v184, v185                          // 00000000A75C: D2A2008E 000373B8
	v_cvt_pk_fp8_f32 v142, v186, v187 op_sel:[0,0,1]           // 00000000A764: D2A2408E 000377BA
	v_mul_f32_e32 v188, v23, v188                              // 00000000A76C: 0B797917
	v_mul_f32_e32 v189, v23, v189                              // 00000000A770: 0B7B7B17
	v_mul_f32_e32 v190, v23, v190                              // 00000000A774: 0B7D7D17
	v_mul_f32_e32 v191, v23, v191                              // 00000000A778: 0B7F7F17
	v_cvt_pk_fp8_f32 v143, v188, v189                          // 00000000A77C: D2A2008F 00037BBC
	v_cvt_pk_fp8_f32 v143, v190, v191 op_sel:[0,0,1]           // 00000000A784: D2A2408F 00037FBE
	v_rcp_f32_e32 v24, v22                                     // 00000000A78C: 7E304516
	v_rcp_f32_e32 v25, v23                                     // 00000000A790: 7E324517
	v_lshrrev_b32_e32 v52, 5, v0                               // 00000000A794: 20680085
	v_lshlrev_b32_e32 v53, 5, v52                              // 00000000A798: 246A6885
	v_and_b32_e32 v52, 31, v0                                  // 00000000A79C: 2668009F
	v_lshrrev_b32_e32 v54, 4, v52                              // 00000000A7A0: 206C6884
	v_add_u32_e32 v53, v54, v53                                // 00000000A7A4: 686A6B36
	v_and_b32_e32 v52, 15, v0                                  // 00000000A7A8: 2668008F
	v_lshlrev_b32_e32 v52, 1, v52                              // 00000000A7AC: 24686881
	v_add_u32_e32 v53, v52, v53                                // 00000000A7B0: 686A6B34
	v_lshlrev_b32_e32 v52, 2, v53                              // 00000000A7B4: 24686A82
	s_mul_i32 s60, 0x100, s7                                   // 00000000A7B8: 923C07FF 00000100
	v_add_u32_e64 v52, v52, s60                                // 00000000A7C0: D1340034 00007934
	ds_write_b32 v52, v128 offset:18688                        // 00000000A7C8: D81A4900 00008034
	ds_write_b32 v52, v129 offset:26880                        // 00000000A7D0: D81A6900 00008134
	ds_write_b32 v52, v130 offset:19712                        // 00000000A7D8: D81A4D00 00008234
	ds_write_b32 v52, v131 offset:27904                        // 00000000A7E0: D81A6D00 00008334
	ds_write_b32 v52, v132 offset:20736                        // 00000000A7E8: D81A5100 00008434
	ds_write_b32 v52, v133 offset:28928                        // 00000000A7F0: D81A7100 00008534
	ds_write_b32 v52, v134 offset:21760                        // 00000000A7F8: D81A5500 00008634
	ds_write_b32 v52, v135 offset:29952                        // 00000000A800: D81A7500 00008734
	ds_write_b32 v52, v136 offset:22784                        // 00000000A808: D81A5900 00008834
	ds_write_b32 v52, v137 offset:30976                        // 00000000A810: D81A7900 00008934
	ds_write_b32 v52, v138 offset:23808                        // 00000000A818: D81A5D00 00008A34
	ds_write_b32 v52, v139 offset:32000                        // 00000000A820: D81A7D00 00008B34
	ds_write_b32 v52, v140 offset:24832                        // 00000000A828: D81A6100 00008C34
	ds_write_b32 v52, v141 offset:33024                        // 00000000A830: D81A8100 00008D34
	ds_write_b32 v52, v142 offset:25856                        // 00000000A838: D81A6500 00008E34
	ds_write_b32 v52, v143 offset:34048                        // 00000000A840: D81A8500 00008F34
	s_waitcnt lgkmcnt(0)                                       // 00000000A848: BF8CC07F
	s_barrier                                                  // 00000000A84C: BF8A0000
	v_lshrrev_b32_e32 v52, 4, v0                               // 00000000A850: 20680084
	v_lshlrev_b32_e32 v53, 6, v52                              // 00000000A854: 246A6886
	v_and_b32_e32 v52, 15, v0                                  // 00000000A858: 2668008F
	v_lshlrev_b32_e32 v52, 1, v52                              // 00000000A85C: 24686881
	v_add_u32_e32 v53, v52, v53                                // 00000000A860: 686A6B34
	v_lshlrev_b32_e32 v52, 2, v53                              // 00000000A864: 24686A82
	ds_read_b64 v[128:129], v52 offset:18688                   // 00000000A868: D8EC4900 80000034
	ds_read_b64 v[130:131], v52 offset:18816                   // 00000000A870: D8EC4980 82000034
	ds_read_b64 v[132:133], v52 offset:19712                   // 00000000A878: D8EC4D00 84000034
	ds_read_b64 v[134:135], v52 offset:19840                   // 00000000A880: D8EC4D80 86000034
	ds_read_b64 v[136:137], v52 offset:20736                   // 00000000A888: D8EC5100 88000034
	ds_read_b64 v[138:139], v52 offset:20864                   // 00000000A890: D8EC5180 8A000034
	ds_read_b64 v[140:141], v52 offset:21760                   // 00000000A898: D8EC5500 8C000034
	ds_read_b64 v[142:143], v52 offset:21888                   // 00000000A8A0: D8EC5580 8E000034
	ds_read_b64 v[144:145], v52 offset:22784                   // 00000000A8A8: D8EC5900 90000034
	ds_read_b64 v[146:147], v52 offset:22912                   // 00000000A8B0: D8EC5980 92000034
	ds_read_b64 v[148:149], v52 offset:23808                   // 00000000A8B8: D8EC5D00 94000034
	ds_read_b64 v[150:151], v52 offset:23936                   // 00000000A8C0: D8EC5D80 96000034
	ds_read_b64 v[152:153], v52 offset:24832                   // 00000000A8C8: D8EC6100 98000034
	ds_read_b64 v[154:155], v52 offset:24960                   // 00000000A8D0: D8EC6180 9A000034
	ds_read_b64 v[156:157], v52 offset:25856                   // 00000000A8D8: D8EC6500 9C000034
	ds_read_b64 v[158:159], v52 offset:25984                   // 00000000A8E0: D8EC6580 9E000034
	ds_read_b64 v[160:161], v52 offset:26880                   // 00000000A8E8: D8EC6900 A0000034
	ds_read_b64 v[162:163], v52 offset:27008                   // 00000000A8F0: D8EC6980 A2000034
	ds_read_b64 v[164:165], v52 offset:27904                   // 00000000A8F8: D8EC6D00 A4000034
	ds_read_b64 v[166:167], v52 offset:28032                   // 00000000A900: D8EC6D80 A6000034
	ds_read_b64 v[168:169], v52 offset:28928                   // 00000000A908: D8EC7100 A8000034
	ds_read_b64 v[170:171], v52 offset:29056                   // 00000000A910: D8EC7180 AA000034
	ds_read_b64 v[172:173], v52 offset:29952                   // 00000000A918: D8EC7500 AC000034
	ds_read_b64 v[174:175], v52 offset:30080                   // 00000000A920: D8EC7580 AE000034
	ds_read_b64 v[176:177], v52 offset:30976                   // 00000000A928: D8EC7900 B0000034
	ds_read_b64 v[178:179], v52 offset:31104                   // 00000000A930: D8EC7980 B2000034
	ds_read_b64 v[180:181], v52 offset:32000                   // 00000000A938: D8EC7D00 B4000034
	ds_read_b64 v[182:183], v52 offset:32128                   // 00000000A940: D8EC7D80 B6000034
	ds_read_b64 v[184:185], v52 offset:33024                   // 00000000A948: D8EC8100 B8000034
	ds_read_b64 v[186:187], v52 offset:33152                   // 00000000A950: D8EC8180 BA000034
	ds_read_b64 v[188:189], v52 offset:34048                   // 00000000A958: D8EC8500 BC000034
	ds_read_b64 v[190:191], v52 offset:34176                   // 00000000A960: D8EC8580 BE000034
	s_add_u32 s12, s56, s12                                    // 00000000A968: 800C0C38
	s_addc_u32 s13, 0, s13                                     // 00000000A96C: 820D0D80
	s_add_u32 s16, s79, s16                                    // 00000000A970: 8010104F
	s_addc_u32 s17, 0, s17                                     // 00000000A974: 82111180
	s_mov_b32 s80, 0                                           // 00000000A978: BED00080
	s_waitcnt vmcnt(0) expcnt(0) lgkmcnt(0)                    // 00000000A97C: BF8C0000

000000000000a980 <label_1FA0>:
	s_waitcnt vmcnt(45)                                        // 00000000A980: BF8C8F7D
	s_barrier                                                  // 00000000A984: BF8A0000
	v_mfma_f32_16x16x32_fp8_fp8 v[192:195], a[0:1], v[128:129], 0// 00000000A988: D3F300C0 0A030100
	buffer_load_dwordx4 a[128:131], v42, s[12:15], 0 offen     // 00000000A990: E05C1000 8083802A
	v_mfma_f32_16x16x32_fp8_fp8 v[192:195], a[2:3], v[130:131], v[192:195]// 00000000A998: D3F300C0 0F030502
	v_mfma_f32_16x16x32_fp8_fp8 v[196:199], a[0:1], v[160:161], 0// 00000000A9A0: D3F300C4 0A034100
	v_mfma_f32_16x16x32_fp8_fp8 v[196:199], a[2:3], v[162:163], v[196:199]// 00000000A9A8: D3F300C4 0F134502
	v_mfma_f32_16x16x32_fp8_fp8 v[200:203], a[4:5], v[128:129], 0// 00000000A9B0: D3F300C8 0A030104
	buffer_load_dwordx4 a[132:135], v43, s[12:15], 0 offen     // 00000000A9B8: E05C1000 8083842B
	v_mfma_f32_16x16x32_fp8_fp8 v[200:203], a[6:7], v[130:131], v[200:203]// 00000000A9C0: D3F300C8 0F230506
	v_mfma_f32_16x16x32_fp8_fp8 v[204:207], a[4:5], v[160:161], 0// 00000000A9C8: D3F300CC 0A034104
	v_mfma_f32_16x16x32_fp8_fp8 v[204:207], a[6:7], v[162:163], v[204:207]// 00000000A9D0: D3F300CC 0F334506
	v_mfma_f32_16x16x32_fp8_fp8 v[208:211], a[8:9], v[128:129], 0// 00000000A9D8: D3F300D0 0A030108
	buffer_load_dwordx4 a[136:139], v44, s[12:15], 0 offen     // 00000000A9E0: E05C1000 8083882C
	v_mfma_f32_16x16x32_fp8_fp8 v[208:211], a[10:11], v[130:131], v[208:211]// 00000000A9E8: D3F300D0 0F43050A
	v_mfma_f32_16x16x32_fp8_fp8 v[212:215], a[8:9], v[160:161], 0// 00000000A9F0: D3F300D4 0A034108
	v_mfma_f32_16x16x32_fp8_fp8 v[212:215], a[10:11], v[162:163], v[212:215]// 00000000A9F8: D3F300D4 0F53450A
	v_mfma_f32_16x16x32_fp8_fp8 v[216:219], a[12:13], v[128:129], 0// 00000000AA00: D3F300D8 0A03010C
	buffer_load_dwordx4 a[140:143], v45, s[12:15], 0 offen     // 00000000AA08: E05C1000 80838C2D
	s_add_u32 s12, s78, s12                                    // 00000000AA10: 800C0C4E
	s_addc_u32 s13, 0, s13                                     // 00000000AA14: 820D0D80
	v_mfma_f32_16x16x32_fp8_fp8 v[216:219], a[14:15], v[130:131], v[216:219]// 00000000AA18: D3F300D8 0F63050E
	v_mfma_f32_16x16x32_fp8_fp8 v[220:223], a[12:13], v[160:161], 0// 00000000AA20: D3F300DC 0A03410C
	v_mfma_f32_16x16x32_fp8_fp8 v[220:223], a[14:15], v[162:163], v[220:223]// 00000000AA28: D3F300DC 0F73450E
	s_waitcnt vmcnt(45)                                        // 00000000AA30: BF8C8F7D
	v_mfma_f32_16x16x32_fp8_fp8 v[192:195], a[16:17], v[132:133], v[192:195]// 00000000AA34: D3F300C0 0F030910
	buffer_load_dwordx4 a[144:147], v42, s[12:15], 0 offen     // 00000000AA3C: E05C1000 8083902A
	v_mfma_f32_16x16x32_fp8_fp8 v[192:195], a[18:19], v[134:135], v[192:195]// 00000000AA44: D3F300C0 0F030D12
	v_mfma_f32_16x16x32_fp8_fp8 v[196:199], a[16:17], v[164:165], v[196:199]// 00000000AA4C: D3F300C4 0F134910
	v_mfma_f32_16x16x32_fp8_fp8 v[196:199], a[18:19], v[166:167], v[196:199]// 00000000AA54: D3F300C4 0F134D12
	v_mfma_f32_16x16x32_fp8_fp8 v[200:203], a[20:21], v[132:133], v[200:203]// 00000000AA5C: D3F300C8 0F230914
	buffer_load_dwordx4 a[148:151], v43, s[12:15], 0 offen     // 00000000AA64: E05C1000 8083942B
	v_mfma_f32_16x16x32_fp8_fp8 v[200:203], a[22:23], v[134:135], v[200:203]// 00000000AA6C: D3F300C8 0F230D16
	v_mfma_f32_16x16x32_fp8_fp8 v[204:207], a[20:21], v[164:165], v[204:207]// 00000000AA74: D3F300CC 0F334914
	v_mfma_f32_16x16x32_fp8_fp8 v[204:207], a[22:23], v[166:167], v[204:207]// 00000000AA7C: D3F300CC 0F334D16
	v_mfma_f32_16x16x32_fp8_fp8 v[208:211], a[24:25], v[132:133], v[208:211]// 00000000AA84: D3F300D0 0F430918
	buffer_load_dwordx4 a[152:155], v44, s[12:15], 0 offen     // 00000000AA8C: E05C1000 8083982C
	v_mfma_f32_16x16x32_fp8_fp8 v[208:211], a[26:27], v[134:135], v[208:211]// 00000000AA94: D3F300D0 0F430D1A
	v_mfma_f32_16x16x32_fp8_fp8 v[212:215], a[24:25], v[164:165], v[212:215]// 00000000AA9C: D3F300D4 0F534918
	v_mfma_f32_16x16x32_fp8_fp8 v[212:215], a[26:27], v[166:167], v[212:215]// 00000000AAA4: D3F300D4 0F534D1A
	v_mfma_f32_16x16x32_fp8_fp8 v[216:219], a[28:29], v[132:133], v[216:219]// 00000000AAAC: D3F300D8 0F63091C
	buffer_load_dwordx4 a[156:159], v45, s[12:15], 0 offen     // 00000000AAB4: E05C1000 80839C2D
	s_add_u32 s12, s78, s12                                    // 00000000AABC: 800C0C4E
	s_addc_u32 s13, 0, s13                                     // 00000000AAC0: 820D0D80
	v_mfma_f32_16x16x32_fp8_fp8 v[216:219], a[30:31], v[134:135], v[216:219]// 00000000AAC4: D3F300D8 0F630D1E
	v_mfma_f32_16x16x32_fp8_fp8 v[220:223], a[28:29], v[164:165], v[220:223]// 00000000AACC: D3F300DC 0F73491C
	v_mfma_f32_16x16x32_fp8_fp8 v[220:223], a[30:31], v[166:167], v[220:223]// 00000000AAD4: D3F300DC 0F734D1E
	s_waitcnt vmcnt(45)                                        // 00000000AADC: BF8C8F7D
	v_mfma_f32_16x16x32_fp8_fp8 v[192:195], a[32:33], v[136:137], v[192:195]// 00000000AAE0: D3F300C0 0F031120
	buffer_load_dwordx4 a[160:163], v42, s[12:15], 0 offen     // 00000000AAE8: E05C1000 8083A02A
	v_mfma_f32_16x16x32_fp8_fp8 v[192:195], a[34:35], v[138:139], v[192:195]// 00000000AAF0: D3F300C0 0F031522
	v_mfma_f32_16x16x32_fp8_fp8 v[196:199], a[32:33], v[168:169], v[196:199]// 00000000AAF8: D3F300C4 0F135120
	v_mfma_f32_16x16x32_fp8_fp8 v[196:199], a[34:35], v[170:171], v[196:199]// 00000000AB00: D3F300C4 0F135522
	v_mfma_f32_16x16x32_fp8_fp8 v[200:203], a[36:37], v[136:137], v[200:203]// 00000000AB08: D3F300C8 0F231124
	buffer_load_dwordx4 a[164:167], v43, s[12:15], 0 offen     // 00000000AB10: E05C1000 8083A42B
	v_mfma_f32_16x16x32_fp8_fp8 v[200:203], a[38:39], v[138:139], v[200:203]// 00000000AB18: D3F300C8 0F231526
	v_mfma_f32_16x16x32_fp8_fp8 v[204:207], a[36:37], v[168:169], v[204:207]// 00000000AB20: D3F300CC 0F335124
	v_mfma_f32_16x16x32_fp8_fp8 v[204:207], a[38:39], v[170:171], v[204:207]// 00000000AB28: D3F300CC 0F335526
	v_mfma_f32_16x16x32_fp8_fp8 v[208:211], a[40:41], v[136:137], v[208:211]// 00000000AB30: D3F300D0 0F431128
	buffer_load_dwordx4 a[168:171], v44, s[12:15], 0 offen     // 00000000AB38: E05C1000 8083A82C
	v_mfma_f32_16x16x32_fp8_fp8 v[208:211], a[42:43], v[138:139], v[208:211]// 00000000AB40: D3F300D0 0F43152A
	v_mfma_f32_16x16x32_fp8_fp8 v[212:215], a[40:41], v[168:169], v[212:215]// 00000000AB48: D3F300D4 0F535128
	v_mfma_f32_16x16x32_fp8_fp8 v[212:215], a[42:43], v[170:171], v[212:215]// 00000000AB50: D3F300D4 0F53552A
	v_mfma_f32_16x16x32_fp8_fp8 v[216:219], a[44:45], v[136:137], v[216:219]// 00000000AB58: D3F300D8 0F63112C
	buffer_load_dwordx4 a[172:175], v45, s[12:15], 0 offen     // 00000000AB60: E05C1000 8083AC2D
	s_add_u32 s12, s78, s12                                    // 00000000AB68: 800C0C4E
	s_addc_u32 s13, 0, s13                                     // 00000000AB6C: 820D0D80
	v_mfma_f32_16x16x32_fp8_fp8 v[216:219], a[46:47], v[138:139], v[216:219]// 00000000AB70: D3F300D8 0F63152E
	v_mfma_f32_16x16x32_fp8_fp8 v[220:223], a[44:45], v[168:169], v[220:223]// 00000000AB78: D3F300DC 0F73512C
	v_mfma_f32_16x16x32_fp8_fp8 v[220:223], a[46:47], v[170:171], v[220:223]// 00000000AB80: D3F300DC 0F73552E
	s_waitcnt vmcnt(45)                                        // 00000000AB88: BF8C8F7D
	v_mfma_f32_16x16x32_fp8_fp8 v[192:195], a[48:49], v[140:141], v[192:195]// 00000000AB8C: D3F300C0 0F031930
	buffer_load_dwordx4 a[176:179], v42, s[12:15], 0 offen     // 00000000AB94: E05C1000 8083B02A
	v_mfma_f32_16x16x32_fp8_fp8 v[192:195], a[50:51], v[142:143], v[192:195]// 00000000AB9C: D3F300C0 0F031D32
	v_mfma_f32_16x16x32_fp8_fp8 v[196:199], a[48:49], v[172:173], v[196:199]// 00000000ABA4: D3F300C4 0F135930
	v_mfma_f32_16x16x32_fp8_fp8 v[196:199], a[50:51], v[174:175], v[196:199]// 00000000ABAC: D3F300C4 0F135D32
	v_mfma_f32_16x16x32_fp8_fp8 v[200:203], a[52:53], v[140:141], v[200:203]// 00000000ABB4: D3F300C8 0F231934
	buffer_load_dwordx4 a[180:183], v43, s[12:15], 0 offen     // 00000000ABBC: E05C1000 8083B42B
	v_mfma_f32_16x16x32_fp8_fp8 v[200:203], a[54:55], v[142:143], v[200:203]// 00000000ABC4: D3F300C8 0F231D36
	v_mfma_f32_16x16x32_fp8_fp8 v[204:207], a[52:53], v[172:173], v[204:207]// 00000000ABCC: D3F300CC 0F335934
	v_mfma_f32_16x16x32_fp8_fp8 v[204:207], a[54:55], v[174:175], v[204:207]// 00000000ABD4: D3F300CC 0F335D36
	v_mfma_f32_16x16x32_fp8_fp8 v[208:211], a[56:57], v[140:141], v[208:211]// 00000000ABDC: D3F300D0 0F431938
	buffer_load_dwordx4 a[184:187], v44, s[12:15], 0 offen     // 00000000ABE4: E05C1000 8083B82C
	v_mfma_f32_16x16x32_fp8_fp8 v[208:211], a[58:59], v[142:143], v[208:211]// 00000000ABEC: D3F300D0 0F431D3A
	v_mfma_f32_16x16x32_fp8_fp8 v[212:215], a[56:57], v[172:173], v[212:215]// 00000000ABF4: D3F300D4 0F535938
	v_mfma_f32_16x16x32_fp8_fp8 v[212:215], a[58:59], v[174:175], v[212:215]// 00000000ABFC: D3F300D4 0F535D3A
	v_mfma_f32_16x16x32_fp8_fp8 v[216:219], a[60:61], v[140:141], v[216:219]// 00000000AC04: D3F300D8 0F63193C
	buffer_load_dwordx4 a[188:191], v45, s[12:15], 0 offen     // 00000000AC0C: E05C1000 8083BC2D
	s_add_u32 s12, s78, s12                                    // 00000000AC14: 800C0C4E
	s_addc_u32 s13, 0, s13                                     // 00000000AC18: 820D0D80
	v_mfma_f32_16x16x32_fp8_fp8 v[216:219], a[62:63], v[142:143], v[216:219]// 00000000AC1C: D3F300D8 0F631D3E
	v_mfma_f32_16x16x32_fp8_fp8 v[220:223], a[60:61], v[172:173], v[220:223]// 00000000AC24: D3F300DC 0F73593C
	v_mfma_f32_16x16x32_fp8_fp8 v[220:223], a[62:63], v[174:175], v[220:223]// 00000000AC2C: D3F300DC 0F735D3E
	s_waitcnt vmcnt(45)                                        // 00000000AC34: BF8C8F7D
	v_mfma_f32_16x16x32_fp8_fp8 v[192:195], a[64:65], v[144:145], v[192:195]// 00000000AC38: D3F300C0 0F032140
	buffer_load_dwordx4 a[192:195], v42, s[12:15], 0 offen     // 00000000AC40: E05C1000 8083C02A
	v_mfma_f32_16x16x32_fp8_fp8 v[192:195], a[66:67], v[146:147], v[192:195]// 00000000AC48: D3F300C0 0F032542
	v_mfma_f32_16x16x32_fp8_fp8 v[196:199], a[64:65], v[176:177], v[196:199]// 00000000AC50: D3F300C4 0F136140
	v_mfma_f32_16x16x32_fp8_fp8 v[196:199], a[66:67], v[178:179], v[196:199]// 00000000AC58: D3F300C4 0F136542
	v_mfma_f32_16x16x32_fp8_fp8 v[200:203], a[68:69], v[144:145], v[200:203]// 00000000AC60: D3F300C8 0F232144
	buffer_load_dwordx4 a[196:199], v43, s[12:15], 0 offen     // 00000000AC68: E05C1000 8083C42B
	v_mfma_f32_16x16x32_fp8_fp8 v[200:203], a[70:71], v[146:147], v[200:203]// 00000000AC70: D3F300C8 0F232546
	v_mfma_f32_16x16x32_fp8_fp8 v[204:207], a[68:69], v[176:177], v[204:207]// 00000000AC78: D3F300CC 0F336144
	v_mfma_f32_16x16x32_fp8_fp8 v[204:207], a[70:71], v[178:179], v[204:207]// 00000000AC80: D3F300CC 0F336546
	v_mfma_f32_16x16x32_fp8_fp8 v[208:211], a[72:73], v[144:145], v[208:211]// 00000000AC88: D3F300D0 0F432148
	buffer_load_dwordx4 a[200:203], v44, s[12:15], 0 offen     // 00000000AC90: E05C1000 8083C82C
	v_mfma_f32_16x16x32_fp8_fp8 v[208:211], a[74:75], v[146:147], v[208:211]// 00000000AC98: D3F300D0 0F43254A
	v_mfma_f32_16x16x32_fp8_fp8 v[212:215], a[72:73], v[176:177], v[212:215]// 00000000ACA0: D3F300D4 0F536148
	v_mfma_f32_16x16x32_fp8_fp8 v[212:215], a[74:75], v[178:179], v[212:215]// 00000000ACA8: D3F300D4 0F53654A
	v_mfma_f32_16x16x32_fp8_fp8 v[216:219], a[76:77], v[144:145], v[216:219]// 00000000ACB0: D3F300D8 0F63214C
	buffer_load_dwordx4 a[204:207], v45, s[12:15], 0 offen     // 00000000ACB8: E05C1000 8083CC2D
	s_add_u32 s12, s78, s12                                    // 00000000ACC0: 800C0C4E
	s_addc_u32 s13, 0, s13                                     // 00000000ACC4: 820D0D80
	v_mfma_f32_16x16x32_fp8_fp8 v[216:219], a[78:79], v[146:147], v[216:219]// 00000000ACC8: D3F300D8 0F63254E
	v_mfma_f32_16x16x32_fp8_fp8 v[220:223], a[76:77], v[176:177], v[220:223]// 00000000ACD0: D3F300DC 0F73614C
	v_mfma_f32_16x16x32_fp8_fp8 v[220:223], a[78:79], v[178:179], v[220:223]// 00000000ACD8: D3F300DC 0F73654E
	s_waitcnt vmcnt(45)                                        // 00000000ACE0: BF8C8F7D
	v_mfma_f32_16x16x32_fp8_fp8 v[192:195], a[80:81], v[148:149], v[192:195]// 00000000ACE4: D3F300C0 0F032950
	buffer_load_dwordx4 a[208:211], v42, s[12:15], 0 offen     // 00000000ACEC: E05C1000 8083D02A
	v_mfma_f32_16x16x32_fp8_fp8 v[192:195], a[82:83], v[150:151], v[192:195]// 00000000ACF4: D3F300C0 0F032D52
	v_mfma_f32_16x16x32_fp8_fp8 v[196:199], a[80:81], v[180:181], v[196:199]// 00000000ACFC: D3F300C4 0F136950
	v_mfma_f32_16x16x32_fp8_fp8 v[196:199], a[82:83], v[182:183], v[196:199]// 00000000AD04: D3F300C4 0F136D52
	v_mfma_f32_16x16x32_fp8_fp8 v[200:203], a[84:85], v[148:149], v[200:203]// 00000000AD0C: D3F300C8 0F232954
	buffer_load_dwordx4 a[212:215], v43, s[12:15], 0 offen     // 00000000AD14: E05C1000 8083D42B
	v_mfma_f32_16x16x32_fp8_fp8 v[200:203], a[86:87], v[150:151], v[200:203]// 00000000AD1C: D3F300C8 0F232D56
	v_mfma_f32_16x16x32_fp8_fp8 v[204:207], a[84:85], v[180:181], v[204:207]// 00000000AD24: D3F300CC 0F336954
	v_mfma_f32_16x16x32_fp8_fp8 v[204:207], a[86:87], v[182:183], v[204:207]// 00000000AD2C: D3F300CC 0F336D56
	v_mfma_f32_16x16x32_fp8_fp8 v[208:211], a[88:89], v[148:149], v[208:211]// 00000000AD34: D3F300D0 0F432958
	buffer_load_dwordx4 a[216:219], v44, s[12:15], 0 offen     // 00000000AD3C: E05C1000 8083D82C
	v_mfma_f32_16x16x32_fp8_fp8 v[208:211], a[90:91], v[150:151], v[208:211]// 00000000AD44: D3F300D0 0F432D5A
	v_mfma_f32_16x16x32_fp8_fp8 v[212:215], a[88:89], v[180:181], v[212:215]// 00000000AD4C: D3F300D4 0F536958
	v_mfma_f32_16x16x32_fp8_fp8 v[212:215], a[90:91], v[182:183], v[212:215]// 00000000AD54: D3F300D4 0F536D5A
	v_mfma_f32_16x16x32_fp8_fp8 v[216:219], a[92:93], v[148:149], v[216:219]// 00000000AD5C: D3F300D8 0F63295C
	buffer_load_dwordx4 a[220:223], v45, s[12:15], 0 offen     // 00000000AD64: E05C1000 8083DC2D
	s_add_u32 s12, s78, s12                                    // 00000000AD6C: 800C0C4E
	s_addc_u32 s13, 0, s13                                     // 00000000AD70: 820D0D80
	v_mfma_f32_16x16x32_fp8_fp8 v[216:219], a[94:95], v[150:151], v[216:219]// 00000000AD74: D3F300D8 0F632D5E
	v_mfma_f32_16x16x32_fp8_fp8 v[220:223], a[92:93], v[180:181], v[220:223]// 00000000AD7C: D3F300DC 0F73695C
	v_mfma_f32_16x16x32_fp8_fp8 v[220:223], a[94:95], v[182:183], v[220:223]// 00000000AD84: D3F300DC 0F736D5E
	s_waitcnt vmcnt(45)                                        // 00000000AD8C: BF8C8F7D
	v_mfma_f32_16x16x32_fp8_fp8 v[192:195], a[96:97], v[152:153], v[192:195]// 00000000AD90: D3F300C0 0F033160
	buffer_load_dwordx4 a[224:227], v42, s[12:15], 0 offen     // 00000000AD98: E05C1000 8083E02A
	v_mfma_f32_16x16x32_fp8_fp8 v[192:195], a[98:99], v[154:155], v[192:195]// 00000000ADA0: D3F300C0 0F033562
	v_mfma_f32_16x16x32_fp8_fp8 v[196:199], a[96:97], v[184:185], v[196:199]// 00000000ADA8: D3F300C4 0F137160
	v_mfma_f32_16x16x32_fp8_fp8 v[196:199], a[98:99], v[186:187], v[196:199]// 00000000ADB0: D3F300C4 0F137562
	v_mfma_f32_16x16x32_fp8_fp8 v[200:203], a[100:101], v[152:153], v[200:203]// 00000000ADB8: D3F300C8 0F233164
	buffer_load_dwordx4 a[228:231], v43, s[12:15], 0 offen     // 00000000ADC0: E05C1000 8083E42B
	v_mfma_f32_16x16x32_fp8_fp8 v[200:203], a[102:103], v[154:155], v[200:203]// 00000000ADC8: D3F300C8 0F233566
	v_mfma_f32_16x16x32_fp8_fp8 v[204:207], a[100:101], v[184:185], v[204:207]// 00000000ADD0: D3F300CC 0F337164
	v_mfma_f32_16x16x32_fp8_fp8 v[204:207], a[102:103], v[186:187], v[204:207]// 00000000ADD8: D3F300CC 0F337566
	v_mfma_f32_16x16x32_fp8_fp8 v[208:211], a[104:105], v[152:153], v[208:211]// 00000000ADE0: D3F300D0 0F433168
	buffer_load_dwordx4 a[232:235], v44, s[12:15], 0 offen     // 00000000ADE8: E05C1000 8083E82C
	v_mfma_f32_16x16x32_fp8_fp8 v[208:211], a[106:107], v[154:155], v[208:211]// 00000000ADF0: D3F300D0 0F43356A
	v_mfma_f32_16x16x32_fp8_fp8 v[212:215], a[104:105], v[184:185], v[212:215]// 00000000ADF8: D3F300D4 0F537168
	v_mfma_f32_16x16x32_fp8_fp8 v[212:215], a[106:107], v[186:187], v[212:215]// 00000000AE00: D3F300D4 0F53756A
	v_mfma_f32_16x16x32_fp8_fp8 v[216:219], a[108:109], v[152:153], v[216:219]// 00000000AE08: D3F300D8 0F63316C
	buffer_load_dwordx4 a[236:239], v45, s[12:15], 0 offen     // 00000000AE10: E05C1000 8083EC2D
	s_add_u32 s12, s78, s12                                    // 00000000AE18: 800C0C4E
	s_addc_u32 s13, 0, s13                                     // 00000000AE1C: 820D0D80
	v_mfma_f32_16x16x32_fp8_fp8 v[216:219], a[110:111], v[154:155], v[216:219]// 00000000AE20: D3F300D8 0F63356E
	v_mfma_f32_16x16x32_fp8_fp8 v[220:223], a[108:109], v[184:185], v[220:223]// 00000000AE28: D3F300DC 0F73716C
	v_mfma_f32_16x16x32_fp8_fp8 v[220:223], a[110:111], v[186:187], v[220:223]// 00000000AE30: D3F300DC 0F73756E
	s_waitcnt vmcnt(44)                                        // 00000000AE38: BF8C8F7C
	v_mfma_f32_16x16x32_fp8_fp8 v[192:195], a[112:113], v[156:157], v[192:195]// 00000000AE3C: D3F300C0 0F033970
	buffer_load_dwordx4 a[240:243], v42, s[12:15], 0 offen     // 00000000AE44: E05C1000 8083F02A
	v_mfma_f32_16x16x32_fp8_fp8 v[192:195], a[114:115], v[158:159], v[192:195]// 00000000AE4C: D3F300C0 0F033D72
	v_mfma_f32_16x16x32_fp8_fp8 v[196:199], a[112:113], v[188:189], v[196:199]// 00000000AE54: D3F300C4 0F137970
	buffer_load_dword v13, v5, s[16:19], 0 offen               // 00000000AE5C: E0501000 80040D05
	v_mfma_f32_16x16x32_fp8_fp8 v[196:199], a[114:115], v[190:191], v[196:199]// 00000000AE64: D3F300C4 0F137D72
	v_mfma_f32_16x16x32_fp8_fp8 v[200:203], a[116:117], v[156:157], v[200:203]// 00000000AE6C: D3F300C8 0F233974
	buffer_load_dwordx4 a[244:247], v43, s[12:15], 0 offen     // 00000000AE74: E05C1000 8083F42B
	v_mfma_f32_16x16x32_fp8_fp8 v[200:203], a[118:119], v[158:159], v[200:203]// 00000000AE7C: D3F300C8 0F233D76
	v_mfma_f32_16x16x32_fp8_fp8 v[204:207], a[116:117], v[188:189], v[204:207]// 00000000AE84: D3F300CC 0F337974
	v_mfma_f32_16x16x32_fp8_fp8 v[204:207], a[118:119], v[190:191], v[204:207]// 00000000AE8C: D3F300CC 0F337D76
	v_mfma_f32_16x16x32_fp8_fp8 v[208:211], a[120:121], v[156:157], v[208:211]// 00000000AE94: D3F300D0 0F433978
	buffer_load_dwordx4 a[248:251], v44, s[12:15], 0 offen     // 00000000AE9C: E05C1000 8083F82C
	v_mfma_f32_16x16x32_fp8_fp8 v[208:211], a[122:123], v[158:159], v[208:211]// 00000000AEA4: D3F300D0 0F433D7A
	v_mfma_f32_16x16x32_fp8_fp8 v[212:215], a[120:121], v[188:189], v[212:215]// 00000000AEAC: D3F300D4 0F537978
	v_mfma_f32_16x16x32_fp8_fp8 v[212:215], a[122:123], v[190:191], v[212:215]// 00000000AEB4: D3F300D4 0F537D7A
	v_mfma_f32_16x16x32_fp8_fp8 v[216:219], a[124:125], v[156:157], v[216:219]// 00000000AEBC: D3F300D8 0F63397C
	buffer_load_dwordx4 a[252:255], v45, s[12:15], 0 offen     // 00000000AEC4: E05C1000 8083FC2D
	v_mfma_f32_16x16x32_fp8_fp8 v[216:219], a[126:127], v[158:159], v[216:219]// 00000000AECC: D3F300D8 0F633D7E
	v_mfma_f32_16x16x32_fp8_fp8 v[220:223], a[124:125], v[188:189], v[220:223]// 00000000AED4: D3F300DC 0F73797C
	v_mfma_f32_16x16x32_fp8_fp8 v[220:223], a[126:127], v[190:191], v[220:223]// 00000000AEDC: D3F300DC 0F737D7E
	s_add_u32 s60, 0x200, s80                                  // 00000000AEE4: 803C50FF 00000200
	s_cmp_lt_u32 s60, s81                                      // 00000000AEEC: BF0A513C
	s_cselect_b32 s56, s56, 0                                  // 00000000AEF0: 85388038
	s_cselect_b32 s78, s78, 0                                  // 00000000AEF4: 854E804E
	s_cselect_b32 s79, s79, 0                                  // 00000000AEF8: 854F804F
	s_add_u32 s12, s56, s12                                    // 00000000AEFC: 800C0C38
	s_addc_u32 s13, 0, s13                                     // 00000000AF00: 820D0D80
	s_add_u32 s16, s79, s16                                    // 00000000AF04: 8010104F
	s_addc_u32 s17, 0, s17                                     // 00000000AF08: 82111180
	v_mul_f32_e32 v192, v24, v192                              // 00000000AF0C: 0B818118
	v_mul_f32_e32 v193, v24, v193                              // 00000000AF10: 0B838318
	v_mul_f32_e32 v194, v24, v194                              // 00000000AF14: 0B858518
	v_mul_f32_e32 v195, v24, v195                              // 00000000AF18: 0B878718
	v_mul_f32_dpp v192, v12, v192 row_newbcast:0 row_mask:0xf bank_mask:0xf// 00000000AF1C: 0B8180FA FF01500C
	v_mul_f32_dpp v193, v12, v193 row_newbcast:1 row_mask:0xf bank_mask:0xf// 00000000AF24: 0B8382FA FF01510C
	v_mul_f32_dpp v194, v12, v194 row_newbcast:2 row_mask:0xf bank_mask:0xf// 00000000AF2C: 0B8584FA FF01520C
	v_mul_f32_dpp v195, v12, v195 row_newbcast:3 row_mask:0xf bank_mask:0xf// 00000000AF34: 0B8786FA FF01530C
	v_mul_f32_e32 v192, v20, v192                              // 00000000AF3C: 0B818114
	v_mul_f32_e32 v193, v20, v193                              // 00000000AF40: 0B838314
	v_mul_f32_e32 v194, v20, v194                              // 00000000AF44: 0B858514
	v_mul_f32_e32 v195, v20, v195                              // 00000000AF48: 0B878714
	v_mul_f32_e32 v196, v25, v196                              // 00000000AF4C: 0B898919
	v_mul_f32_e32 v197, v25, v197                              // 00000000AF50: 0B8B8B19
	v_mul_f32_e32 v198, v25, v198                              // 00000000AF54: 0B8D8D19
	v_mul_f32_e32 v199, v25, v199                              // 00000000AF58: 0B8F8F19
	v_mul_f32_dpp v196, v12, v196 row_newbcast:0 row_mask:0xf bank_mask:0xf// 00000000AF5C: 0B8988FA FF01500C
	v_mul_f32_dpp v197, v12, v197 row_newbcast:1 row_mask:0xf bank_mask:0xf// 00000000AF64: 0B8B8AFA FF01510C
	v_mul_f32_dpp v198, v12, v198 row_newbcast:2 row_mask:0xf bank_mask:0xf// 00000000AF6C: 0B8D8CFA FF01520C
	v_mul_f32_dpp v199, v12, v199 row_newbcast:3 row_mask:0xf bank_mask:0xf// 00000000AF74: 0B8F8EFA FF01530C
	v_mul_f32_e32 v196, v21, v196                              // 00000000AF7C: 0B898915
	v_mul_f32_e32 v197, v21, v197                              // 00000000AF80: 0B8B8B15
	v_mul_f32_e32 v198, v21, v198                              // 00000000AF84: 0B8D8D15
	v_mul_f32_e32 v199, v21, v199                              // 00000000AF88: 0B8F8F15
	v_mul_f32_e32 v200, v24, v200                              // 00000000AF8C: 0B919118
	v_mul_f32_e32 v201, v24, v201                              // 00000000AF90: 0B939318
	v_mul_f32_e32 v202, v24, v202                              // 00000000AF94: 0B959518
	v_mul_f32_e32 v203, v24, v203                              // 00000000AF98: 0B979718
	v_mul_f32_dpp v200, v12, v200 row_newbcast:4 row_mask:0xf bank_mask:0xf// 00000000AF9C: 0B9190FA FF01540C
	v_mul_f32_dpp v201, v12, v201 row_newbcast:5 row_mask:0xf bank_mask:0xf// 00000000AFA4: 0B9392FA FF01550C
	v_mul_f32_dpp v202, v12, v202 row_newbcast:6 row_mask:0xf bank_mask:0xf// 00000000AFAC: 0B9594FA FF01560C
	v_mul_f32_dpp v203, v12, v203 row_newbcast:7 row_mask:0xf bank_mask:0xf// 00000000AFB4: 0B9796FA FF01570C
	v_mul_f32_e32 v200, v20, v200                              // 00000000AFBC: 0B919114
	v_mul_f32_e32 v201, v20, v201                              // 00000000AFC0: 0B939314
	v_mul_f32_e32 v202, v20, v202                              // 00000000AFC4: 0B959514
	v_mul_f32_e32 v203, v20, v203                              // 00000000AFC8: 0B979714
	v_mul_f32_e32 v204, v25, v204                              // 00000000AFCC: 0B999919
	v_mul_f32_e32 v205, v25, v205                              // 00000000AFD0: 0B9B9B19
	v_mul_f32_e32 v206, v25, v206                              // 00000000AFD4: 0B9D9D19
	v_mul_f32_e32 v207, v25, v207                              // 00000000AFD8: 0B9F9F19
	v_mul_f32_dpp v204, v12, v204 row_newbcast:4 row_mask:0xf bank_mask:0xf// 00000000AFDC: 0B9998FA FF01540C
	v_mul_f32_dpp v205, v12, v205 row_newbcast:5 row_mask:0xf bank_mask:0xf// 00000000AFE4: 0B9B9AFA FF01550C
	v_mul_f32_dpp v206, v12, v206 row_newbcast:6 row_mask:0xf bank_mask:0xf// 00000000AFEC: 0B9D9CFA FF01560C
	v_mul_f32_dpp v207, v12, v207 row_newbcast:7 row_mask:0xf bank_mask:0xf// 00000000AFF4: 0B9F9EFA FF01570C
	v_mul_f32_e32 v204, v21, v204                              // 00000000AFFC: 0B999915
	v_mul_f32_e32 v205, v21, v205                              // 00000000B000: 0B9B9B15
	v_mul_f32_e32 v206, v21, v206                              // 00000000B004: 0B9D9D15
	v_mul_f32_e32 v207, v21, v207                              // 00000000B008: 0B9F9F15
	v_mul_f32_e32 v208, v24, v208                              // 00000000B00C: 0BA1A118
	v_mul_f32_e32 v209, v24, v209                              // 00000000B010: 0BA3A318
	v_mul_f32_e32 v210, v24, v210                              // 00000000B014: 0BA5A518
	v_mul_f32_e32 v211, v24, v211                              // 00000000B018: 0BA7A718
	v_mul_f32_dpp v208, v12, v208 row_newbcast:8 row_mask:0xf bank_mask:0xf// 00000000B01C: 0BA1A0FA FF01580C
	v_mul_f32_dpp v209, v12, v209 row_newbcast:9 row_mask:0xf bank_mask:0xf// 00000000B024: 0BA3A2FA FF01590C
	v_mul_f32_dpp v210, v12, v210 row_newbcast:10 row_mask:0xf bank_mask:0xf// 00000000B02C: 0BA5A4FA FF015A0C
	v_mul_f32_dpp v211, v12, v211 row_newbcast:11 row_mask:0xf bank_mask:0xf// 00000000B034: 0BA7A6FA FF015B0C
	v_mul_f32_e32 v208, v20, v208                              // 00000000B03C: 0BA1A114
	v_mul_f32_e32 v209, v20, v209                              // 00000000B040: 0BA3A314
	v_mul_f32_e32 v210, v20, v210                              // 00000000B044: 0BA5A514
	v_mul_f32_e32 v211, v20, v211                              // 00000000B048: 0BA7A714
	v_mul_f32_e32 v212, v25, v212                              // 00000000B04C: 0BA9A919
	v_mul_f32_e32 v213, v25, v213                              // 00000000B050: 0BABAB19
	v_mul_f32_e32 v214, v25, v214                              // 00000000B054: 0BADAD19
	v_mul_f32_e32 v215, v25, v215                              // 00000000B058: 0BAFAF19
	v_mul_f32_dpp v212, v12, v212 row_newbcast:8 row_mask:0xf bank_mask:0xf// 00000000B05C: 0BA9A8FA FF01580C
	v_mul_f32_dpp v213, v12, v213 row_newbcast:9 row_mask:0xf bank_mask:0xf// 00000000B064: 0BABAAFA FF01590C
	v_mul_f32_dpp v214, v12, v214 row_newbcast:10 row_mask:0xf bank_mask:0xf// 00000000B06C: 0BADACFA FF015A0C
	v_mul_f32_dpp v215, v12, v215 row_newbcast:11 row_mask:0xf bank_mask:0xf// 00000000B074: 0BAFAEFA FF015B0C
	v_mul_f32_e32 v212, v21, v212                              // 00000000B07C: 0BA9A915
	v_mul_f32_e32 v213, v21, v213                              // 00000000B080: 0BABAB15
	v_mul_f32_e32 v214, v21, v214                              // 00000000B084: 0BADAD15
	v_mul_f32_e32 v215, v21, v215                              // 00000000B088: 0BAFAF15
	v_mul_f32_e32 v216, v24, v216                              // 00000000B08C: 0BB1B118
	v_mul_f32_e32 v217, v24, v217                              // 00000000B090: 0BB3B318
	v_mul_f32_e32 v218, v24, v218                              // 00000000B094: 0BB5B518
	v_mul_f32_e32 v219, v24, v219                              // 00000000B098: 0BB7B718
	v_mul_f32_dpp v216, v12, v216 row_newbcast:12 row_mask:0xf bank_mask:0xf// 00000000B09C: 0BB1B0FA FF015C0C
	v_mul_f32_dpp v217, v12, v217 row_newbcast:13 row_mask:0xf bank_mask:0xf// 00000000B0A4: 0BB3B2FA FF015D0C
	v_mul_f32_dpp v218, v12, v218 row_newbcast:14 row_mask:0xf bank_mask:0xf// 00000000B0AC: 0BB5B4FA FF015E0C
	v_mul_f32_dpp v219, v12, v219 row_newbcast:15 row_mask:0xf bank_mask:0xf// 00000000B0B4: 0BB7B6FA FF015F0C
	v_mul_f32_e32 v216, v20, v216                              // 00000000B0BC: 0BB1B114
	v_mul_f32_e32 v217, v20, v217                              // 00000000B0C0: 0BB3B314
	v_mul_f32_e32 v218, v20, v218                              // 00000000B0C4: 0BB5B514
	v_mul_f32_e32 v219, v20, v219                              // 00000000B0C8: 0BB7B714
	v_mul_f32_e32 v220, v25, v220                              // 00000000B0CC: 0BB9B919
	v_mul_f32_e32 v221, v25, v221                              // 00000000B0D0: 0BBBBB19
	v_mul_f32_e32 v222, v25, v222                              // 00000000B0D4: 0BBDBD19
	v_mul_f32_e32 v223, v25, v223                              // 00000000B0D8: 0BBFBF19
	v_mul_f32_dpp v220, v12, v220 row_newbcast:12 row_mask:0xf bank_mask:0xf// 00000000B0DC: 0BB9B8FA FF015C0C
	v_mul_f32_dpp v221, v12, v221 row_newbcast:13 row_mask:0xf bank_mask:0xf// 00000000B0E4: 0BBBBAFA FF015D0C
	v_mul_f32_dpp v222, v12, v222 row_newbcast:14 row_mask:0xf bank_mask:0xf// 00000000B0EC: 0BBDBCFA FF015E0C
	v_mul_f32_dpp v223, v12, v223 row_newbcast:15 row_mask:0xf bank_mask:0xf// 00000000B0F4: 0BBFBEFA FF015F0C
	v_mul_f32_e32 v220, v21, v220                              // 00000000B0FC: 0BB9B915
	v_mul_f32_e32 v221, v21, v221                              // 00000000B100: 0BBBBB15
	v_mul_f32_e32 v222, v21, v222                              // 00000000B104: 0BBDBD15
	v_mul_f32_e32 v223, v21, v223                              // 00000000B108: 0BBFBF15
	v_cmp_u_f32_e64 s[48:49], v192, v192                       // 00000000B10C: D0480030 000381C0
	v_add3_u32 v46, v192, v49, 1                               // 00000000B114: D1FF002E 020663C0
	v_cndmask_b32_e64 v52, v46, v48, s[48:49]                  // 00000000B11C: D1000034 00C2612E
	v_cmp_u_f32_e64 s[48:49], v193, v193                       // 00000000B124: D0480030 000383C1
	v_add3_u32 v46, v193, v49, 1                               // 00000000B12C: D1FF002E 020663C1
	v_cndmask_b32_e64 v53, v46, v48, s[48:49]                  // 00000000B134: D1000035 00C2612E
	v_perm_b32 v192, v53, v52, s52                             // 00000000B13C: D1ED00C0 00D26935
	v_cmp_u_f32_e64 s[48:49], v194, v194                       // 00000000B144: D0480030 000385C2
	v_add3_u32 v46, v194, v49, 1                               // 00000000B14C: D1FF002E 020663C2
	v_cndmask_b32_e64 v52, v46, v48, s[48:49]                  // 00000000B154: D1000034 00C2612E
	v_cmp_u_f32_e64 s[48:49], v195, v195                       // 00000000B15C: D0480030 000387C3
	v_add3_u32 v46, v195, v49, 1                               // 00000000B164: D1FF002E 020663C3
	v_cndmask_b32_e64 v53, v46, v48, s[48:49]                  // 00000000B16C: D1000035 00C2612E
	v_perm_b32 v193, v53, v52, s52                             // 00000000B174: D1ED00C1 00D26935
	v_cmp_u_f32_e64 s[48:49], v196, v196                       // 00000000B17C: D0480030 000389C4
	v_add3_u32 v46, v196, v49, 1                               // 00000000B184: D1FF002E 020663C4
	v_cndmask_b32_e64 v52, v46, v48, s[48:49]                  // 00000000B18C: D1000034 00C2612E
	v_cmp_u_f32_e64 s[48:49], v197, v197                       // 00000000B194: D0480030 00038BC5
	v_add3_u32 v46, v197, v49, 1                               // 00000000B19C: D1FF002E 020663C5
	v_cndmask_b32_e64 v53, v46, v48, s[48:49]                  // 00000000B1A4: D1000035 00C2612E
	v_perm_b32 v194, v53, v52, s52                             // 00000000B1AC: D1ED00C2 00D26935
	v_cmp_u_f32_e64 s[48:49], v198, v198                       // 00000000B1B4: D0480030 00038DC6
	v_add3_u32 v46, v198, v49, 1                               // 00000000B1BC: D1FF002E 020663C6
	v_cndmask_b32_e64 v52, v46, v48, s[48:49]                  // 00000000B1C4: D1000034 00C2612E
	v_cmp_u_f32_e64 s[48:49], v199, v199                       // 00000000B1CC: D0480030 00038FC7
	v_add3_u32 v46, v199, v49, 1                               // 00000000B1D4: D1FF002E 020663C7
	v_cndmask_b32_e64 v53, v46, v48, s[48:49]                  // 00000000B1DC: D1000035 00C2612E
	v_perm_b32 v195, v53, v52, s52                             // 00000000B1E4: D1ED00C3 00D26935
	v_cmp_u_f32_e64 s[48:49], v200, v200                       // 00000000B1EC: D0480030 000391C8
	v_add3_u32 v46, v200, v49, 1                               // 00000000B1F4: D1FF002E 020663C8
	v_cndmask_b32_e64 v52, v46, v48, s[48:49]                  // 00000000B1FC: D1000034 00C2612E
	v_cmp_u_f32_e64 s[48:49], v201, v201                       // 00000000B204: D0480030 000393C9
	v_add3_u32 v46, v201, v49, 1                               // 00000000B20C: D1FF002E 020663C9
	v_cndmask_b32_e64 v53, v46, v48, s[48:49]                  // 00000000B214: D1000035 00C2612E
	v_perm_b32 v196, v53, v52, s52                             // 00000000B21C: D1ED00C4 00D26935
	v_cmp_u_f32_e64 s[48:49], v202, v202                       // 00000000B224: D0480030 000395CA
	v_add3_u32 v46, v202, v49, 1                               // 00000000B22C: D1FF002E 020663CA
	v_cndmask_b32_e64 v52, v46, v48, s[48:49]                  // 00000000B234: D1000034 00C2612E
	v_cmp_u_f32_e64 s[48:49], v203, v203                       // 00000000B23C: D0480030 000397CB
	v_add3_u32 v46, v203, v49, 1                               // 00000000B244: D1FF002E 020663CB
	v_cndmask_b32_e64 v53, v46, v48, s[48:49]                  // 00000000B24C: D1000035 00C2612E
	v_perm_b32 v197, v53, v52, s52                             // 00000000B254: D1ED00C5 00D26935
	v_cmp_u_f32_e64 s[48:49], v204, v204                       // 00000000B25C: D0480030 000399CC
	v_add3_u32 v46, v204, v49, 1                               // 00000000B264: D1FF002E 020663CC
	v_cndmask_b32_e64 v52, v46, v48, s[48:49]                  // 00000000B26C: D1000034 00C2612E
	v_cmp_u_f32_e64 s[48:49], v205, v205                       // 00000000B274: D0480030 00039BCD
	v_add3_u32 v46, v205, v49, 1                               // 00000000B27C: D1FF002E 020663CD
	v_cndmask_b32_e64 v53, v46, v48, s[48:49]                  // 00000000B284: D1000035 00C2612E
	v_perm_b32 v198, v53, v52, s52                             // 00000000B28C: D1ED00C6 00D26935
	v_cmp_u_f32_e64 s[48:49], v206, v206                       // 00000000B294: D0480030 00039DCE
	v_add3_u32 v46, v206, v49, 1                               // 00000000B29C: D1FF002E 020663CE
	v_cndmask_b32_e64 v52, v46, v48, s[48:49]                  // 00000000B2A4: D1000034 00C2612E
	v_cmp_u_f32_e64 s[48:49], v207, v207                       // 00000000B2AC: D0480030 00039FCF
	v_add3_u32 v46, v207, v49, 1                               // 00000000B2B4: D1FF002E 020663CF
	v_cndmask_b32_e64 v53, v46, v48, s[48:49]                  // 00000000B2BC: D1000035 00C2612E
	v_perm_b32 v199, v53, v52, s52                             // 00000000B2C4: D1ED00C7 00D26935
	v_cmp_u_f32_e64 s[48:49], v208, v208                       // 00000000B2CC: D0480030 0003A1D0
	v_add3_u32 v46, v208, v49, 1                               // 00000000B2D4: D1FF002E 020663D0
	v_cndmask_b32_e64 v52, v46, v48, s[48:49]                  // 00000000B2DC: D1000034 00C2612E
	v_cmp_u_f32_e64 s[48:49], v209, v209                       // 00000000B2E4: D0480030 0003A3D1
	v_add3_u32 v46, v209, v49, 1                               // 00000000B2EC: D1FF002E 020663D1
	v_cndmask_b32_e64 v53, v46, v48, s[48:49]                  // 00000000B2F4: D1000035 00C2612E
	v_perm_b32 v200, v53, v52, s52                             // 00000000B2FC: D1ED00C8 00D26935
	v_cmp_u_f32_e64 s[48:49], v210, v210                       // 00000000B304: D0480030 0003A5D2
	v_add3_u32 v46, v210, v49, 1                               // 00000000B30C: D1FF002E 020663D2
	v_cndmask_b32_e64 v52, v46, v48, s[48:49]                  // 00000000B314: D1000034 00C2612E
	v_cmp_u_f32_e64 s[48:49], v211, v211                       // 00000000B31C: D0480030 0003A7D3
	v_add3_u32 v46, v211, v49, 1                               // 00000000B324: D1FF002E 020663D3
	v_cndmask_b32_e64 v53, v46, v48, s[48:49]                  // 00000000B32C: D1000035 00C2612E
	v_perm_b32 v201, v53, v52, s52                             // 00000000B334: D1ED00C9 00D26935
	v_cmp_u_f32_e64 s[48:49], v212, v212                       // 00000000B33C: D0480030 0003A9D4
	v_add3_u32 v46, v212, v49, 1                               // 00000000B344: D1FF002E 020663D4
	v_cndmask_b32_e64 v52, v46, v48, s[48:49]                  // 00000000B34C: D1000034 00C2612E
	v_cmp_u_f32_e64 s[48:49], v213, v213                       // 00000000B354: D0480030 0003ABD5
	v_add3_u32 v46, v213, v49, 1                               // 00000000B35C: D1FF002E 020663D5
	v_cndmask_b32_e64 v53, v46, v48, s[48:49]                  // 00000000B364: D1000035 00C2612E
	v_perm_b32 v202, v53, v52, s52                             // 00000000B36C: D1ED00CA 00D26935
	v_cmp_u_f32_e64 s[48:49], v214, v214                       // 00000000B374: D0480030 0003ADD6
	v_add3_u32 v46, v214, v49, 1                               // 00000000B37C: D1FF002E 020663D6
	v_cndmask_b32_e64 v52, v46, v48, s[48:49]                  // 00000000B384: D1000034 00C2612E
	v_cmp_u_f32_e64 s[48:49], v215, v215                       // 00000000B38C: D0480030 0003AFD7
	v_add3_u32 v46, v215, v49, 1                               // 00000000B394: D1FF002E 020663D7
	v_cndmask_b32_e64 v53, v46, v48, s[48:49]                  // 00000000B39C: D1000035 00C2612E
	v_perm_b32 v203, v53, v52, s52                             // 00000000B3A4: D1ED00CB 00D26935
	v_cmp_u_f32_e64 s[48:49], v216, v216                       // 00000000B3AC: D0480030 0003B1D8
	v_add3_u32 v46, v216, v49, 1                               // 00000000B3B4: D1FF002E 020663D8
	v_cndmask_b32_e64 v52, v46, v48, s[48:49]                  // 00000000B3BC: D1000034 00C2612E
	v_cmp_u_f32_e64 s[48:49], v217, v217                       // 00000000B3C4: D0480030 0003B3D9
	v_add3_u32 v46, v217, v49, 1                               // 00000000B3CC: D1FF002E 020663D9
	v_cndmask_b32_e64 v53, v46, v48, s[48:49]                  // 00000000B3D4: D1000035 00C2612E
	v_perm_b32 v204, v53, v52, s52                             // 00000000B3DC: D1ED00CC 00D26935
	v_cmp_u_f32_e64 s[48:49], v218, v218                       // 00000000B3E4: D0480030 0003B5DA
	v_add3_u32 v46, v218, v49, 1                               // 00000000B3EC: D1FF002E 020663DA
	v_cndmask_b32_e64 v52, v46, v48, s[48:49]                  // 00000000B3F4: D1000034 00C2612E
	v_cmp_u_f32_e64 s[48:49], v219, v219                       // 00000000B3FC: D0480030 0003B7DB
	v_add3_u32 v46, v219, v49, 1                               // 00000000B404: D1FF002E 020663DB
	v_cndmask_b32_e64 v53, v46, v48, s[48:49]                  // 00000000B40C: D1000035 00C2612E
	v_perm_b32 v205, v53, v52, s52                             // 00000000B414: D1ED00CD 00D26935
	v_cmp_u_f32_e64 s[48:49], v220, v220                       // 00000000B41C: D0480030 0003B9DC
	v_add3_u32 v46, v220, v49, 1                               // 00000000B424: D1FF002E 020663DC
	v_cndmask_b32_e64 v52, v46, v48, s[48:49]                  // 00000000B42C: D1000034 00C2612E
	v_cmp_u_f32_e64 s[48:49], v221, v221                       // 00000000B434: D0480030 0003BBDD
	v_add3_u32 v46, v221, v49, 1                               // 00000000B43C: D1FF002E 020663DD
	v_cndmask_b32_e64 v53, v46, v48, s[48:49]                  // 00000000B444: D1000035 00C2612E
	v_perm_b32 v206, v53, v52, s52                             // 00000000B44C: D1ED00CE 00D26935
	v_cmp_u_f32_e64 s[48:49], v222, v222                       // 00000000B454: D0480030 0003BDDE
	v_add3_u32 v46, v222, v49, 1                               // 00000000B45C: D1FF002E 020663DE
	v_cndmask_b32_e64 v52, v46, v48, s[48:49]                  // 00000000B464: D1000034 00C2612E
	v_cmp_u_f32_e64 s[48:49], v223, v223                       // 00000000B46C: D0480030 0003BFDF
	v_add3_u32 v46, v223, v49, 1                               // 00000000B474: D1FF002E 020663DF
	v_cndmask_b32_e64 v53, v46, v48, s[48:49]                  // 00000000B47C: D1000035 00C2612E
	v_perm_b32 v207, v53, v52, s52                             // 00000000B484: D1ED00CF 00D26935
	ds_write_b64 v3, v[192:193] offset:35072                   // 00000000B48C: D89A8900 0000C003
	ds_write_b64 v3, v[194:195] offset:43776                   // 00000000B494: D89AAB00 0000C203
	ds_write_b64 v3, v[196:197] offset:37248                   // 00000000B49C: D89A9180 0000C403
	ds_write_b64 v3, v[198:199] offset:45952                   // 00000000B4A4: D89AB380 0000C603
	ds_write_b64 v3, v[200:201] offset:39424                   // 00000000B4AC: D89A9A00 0000C803
	ds_write_b64 v3, v[202:203] offset:48128                   // 00000000B4B4: D89ABC00 0000CA03
	ds_write_b64 v3, v[204:205] offset:41600                   // 00000000B4BC: D89AA280 0000CC03
	ds_write_b64 v3, v[206:207] offset:50304                   // 00000000B4C4: D89AC480 0000CE03
	s_waitcnt lgkmcnt(0)                                       // 00000000B4CC: BF8CC07F
	s_barrier                                                  // 00000000B4D0: BF8A0000
	ds_read_b32 v64, v4 offset:35072                           // 00000000B4D4: D86C8900 40000004
	ds_read_b32 v65, v4 offset:39424                           // 00000000B4DC: D86C9A00 41000004
	ds_read_b32 v66, v4 offset:35104                           // 00000000B4E4: D86C8920 42000004
	ds_read_b32 v67, v4 offset:39456                           // 00000000B4EC: D86C9A20 43000004
	ds_read_b32 v68, v4 offset:35136                           // 00000000B4F4: D86C8940 44000004
	ds_read_b32 v69, v4 offset:39488                           // 00000000B4FC: D86C9A40 45000004
	ds_read_b32 v70, v4 offset:35168                           // 00000000B504: D86C8960 46000004
	ds_read_b32 v71, v4 offset:39520                           // 00000000B50C: D86C9A60 47000004
	ds_read_b32 v72, v4 offset:43776                           // 00000000B514: D86CAB00 48000004
	ds_read_b32 v73, v4 offset:48128                           // 00000000B51C: D86CBC00 49000004
	ds_read_b32 v74, v4 offset:43808                           // 00000000B524: D86CAB20 4A000004
	ds_read_b32 v75, v4 offset:48160                           // 00000000B52C: D86CBC20 4B000004
	ds_read_b32 v76, v4 offset:43840                           // 00000000B534: D86CAB40 4C000004
	ds_read_b32 v77, v4 offset:48192                           // 00000000B53C: D86CBC40 4D000004
	ds_read_b32 v78, v4 offset:43872                           // 00000000B544: D86CAB60 4E000004
	ds_read_b32 v79, v4 offset:48224                           // 00000000B54C: D86CBC60 4F000004
	s_waitcnt lgkmcnt(0)                                       // 00000000B554: BF8CC07F
	s_mov_b64 exec, s[20:21]                                   // 00000000B558: BEFE0114
	global_atomic_pk_add_bf16 v80, v64, s[8:9]                 // 00000000B55C: DD488000 00084050
	s_mov_b64 exec, s[36:37]                                   // 00000000B564: BEFE0124
	s_mov_b64 exec, s[20:21]                                   // 00000000B568: BEFE0114
	global_atomic_pk_add_bf16 v80, v65, s[8:9] offset:256      // 00000000B56C: DD488100 00084150
	s_mov_b64 exec, s[36:37]                                   // 00000000B574: BEFE0124
	s_mov_b64 exec, s[22:23]                                   // 00000000B578: BEFE0116
	global_atomic_pk_add_bf16 v82, v66, s[8:9]                 // 00000000B57C: DD488000 00084252
	s_mov_b64 exec, s[36:37]                                   // 00000000B584: BEFE0124
	s_mov_b64 exec, s[22:23]                                   // 00000000B588: BEFE0116
	global_atomic_pk_add_bf16 v82, v67, s[8:9] offset:256      // 00000000B58C: DD488100 00084352
	s_mov_b64 exec, s[36:37]                                   // 00000000B594: BEFE0124
	s_mov_b64 exec, s[24:25]                                   // 00000000B598: BEFE0118
	global_atomic_pk_add_bf16 v84, v68, s[8:9]                 // 00000000B59C: DD488000 00084454
	s_mov_b64 exec, s[36:37]                                   // 00000000B5A4: BEFE0124
	s_mov_b64 exec, s[24:25]                                   // 00000000B5A8: BEFE0118
	global_atomic_pk_add_bf16 v84, v69, s[8:9] offset:256      // 00000000B5AC: DD488100 00084554
	s_mov_b64 exec, s[36:37]                                   // 00000000B5B4: BEFE0124
	s_mov_b64 exec, s[26:27]                                   // 00000000B5B8: BEFE011A
	global_atomic_pk_add_bf16 v86, v70, s[8:9]                 // 00000000B5BC: DD488000 00084656
	s_mov_b64 exec, s[36:37]                                   // 00000000B5C4: BEFE0124
	s_mov_b64 exec, s[26:27]                                   // 00000000B5C8: BEFE011A
	global_atomic_pk_add_bf16 v86, v71, s[8:9] offset:256      // 00000000B5CC: DD488100 00084756
	s_mov_b64 exec, s[36:37]                                   // 00000000B5D4: BEFE0124
	s_mov_b64 exec, s[28:29]                                   // 00000000B5D8: BEFE011C
	global_atomic_pk_add_bf16 v88, v72, s[8:9]                 // 00000000B5DC: DD488000 00084858
	s_mov_b64 exec, s[36:37]                                   // 00000000B5E4: BEFE0124
	s_mov_b64 exec, s[28:29]                                   // 00000000B5E8: BEFE011C
	global_atomic_pk_add_bf16 v88, v73, s[8:9] offset:256      // 00000000B5EC: DD488100 00084958
	s_mov_b64 exec, s[36:37]                                   // 00000000B5F4: BEFE0124
	s_mov_b64 exec, s[30:31]                                   // 00000000B5F8: BEFE011E
	global_atomic_pk_add_bf16 v90, v74, s[8:9]                 // 00000000B5FC: DD488000 00084A5A
	s_mov_b64 exec, s[36:37]                                   // 00000000B604: BEFE0124
	s_mov_b64 exec, s[30:31]                                   // 00000000B608: BEFE011E
	global_atomic_pk_add_bf16 v90, v75, s[8:9] offset:256      // 00000000B60C: DD488100 00084B5A
	s_mov_b64 exec, s[36:37]                                   // 00000000B614: BEFE0124
	s_mov_b64 exec, s[32:33]                                   // 00000000B618: BEFE0120
	global_atomic_pk_add_bf16 v92, v76, s[8:9]                 // 00000000B61C: DD488000 00084C5C
	s_mov_b64 exec, s[36:37]                                   // 00000000B624: BEFE0124
	s_mov_b64 exec, s[32:33]                                   // 00000000B628: BEFE0120
	global_atomic_pk_add_bf16 v92, v77, s[8:9] offset:256      // 00000000B62C: DD488100 00084D5C
	s_mov_b64 exec, s[36:37]                                   // 00000000B634: BEFE0124
	s_mov_b64 exec, s[34:35]                                   // 00000000B638: BEFE0122
	global_atomic_pk_add_bf16 v94, v78, s[8:9]                 // 00000000B63C: DD488000 00084E5E
	s_mov_b64 exec, s[36:37]                                   // 00000000B644: BEFE0124
	s_mov_b64 exec, s[34:35]                                   // 00000000B648: BEFE0122
	global_atomic_pk_add_bf16 v94, v79, s[8:9] offset:256      // 00000000B64C: DD488100 00084F5E
	s_mov_b64 exec, s[36:37]                                   // 00000000B654: BEFE0124
	s_add_u32 s8, s59, s8                                      // 00000000B658: 8008083B
	s_addc_u32 s9, 0, s9                                       // 00000000B65C: 82090980
	s_addk_i32 s80, 0x100                                      // 00000000B660: B7500100
	s_cmp_lt_i32 s80, s81                                      // 00000000B664: BF045150
	s_cbranch_scc0 label_145E                                  // 00000000B668: BF84F183
	s_waitcnt vmcnt(45)                                        // 00000000B66C: BF8C8F7D
	s_barrier                                                  // 00000000B670: BF8A0000
	v_mfma_f32_16x16x32_fp8_fp8 v[224:227], a[128:129], v[128:129], 0// 00000000B674: D3F300E0 0A030180
	buffer_load_dwordx4 a[0:3], v42, s[12:15], 0 offen         // 00000000B67C: E05C1000 8083002A
	v_mfma_f32_16x16x32_fp8_fp8 v[224:227], a[130:131], v[130:131], v[224:227]// 00000000B684: D3F300E0 0F830582
	v_mfma_f32_16x16x32_fp8_fp8 v[228:231], a[128:129], v[160:161], 0// 00000000B68C: D3F300E4 0A034180
	v_mfma_f32_16x16x32_fp8_fp8 v[228:231], a[130:131], v[162:163], v[228:231]// 00000000B694: D3F300E4 0F934582
	v_mfma_f32_16x16x32_fp8_fp8 v[232:235], a[132:133], v[128:129], 0// 00000000B69C: D3F300E8 0A030184
	buffer_load_dwordx4 a[4:7], v43, s[12:15], 0 offen         // 00000000B6A4: E05C1000 8083042B
	v_mfma_f32_16x16x32_fp8_fp8 v[232:235], a[134:135], v[130:131], v[232:235]// 00000000B6AC: D3F300E8 0FA30586
	v_mfma_f32_16x16x32_fp8_fp8 v[236:239], a[132:133], v[160:161], 0// 00000000B6B4: D3F300EC 0A034184
	v_mfma_f32_16x16x32_fp8_fp8 v[236:239], a[134:135], v[162:163], v[236:239]// 00000000B6BC: D3F300EC 0FB34586
	v_mfma_f32_16x16x32_fp8_fp8 v[240:243], a[136:137], v[128:129], 0// 00000000B6C4: D3F300F0 0A030188
	buffer_load_dwordx4 a[8:11], v44, s[12:15], 0 offen        // 00000000B6CC: E05C1000 8083082C
	v_mfma_f32_16x16x32_fp8_fp8 v[240:243], a[138:139], v[130:131], v[240:243]// 00000000B6D4: D3F300F0 0FC3058A
	v_mfma_f32_16x16x32_fp8_fp8 v[244:247], a[136:137], v[160:161], 0// 00000000B6DC: D3F300F4 0A034188
	v_mfma_f32_16x16x32_fp8_fp8 v[244:247], a[138:139], v[162:163], v[244:247]// 00000000B6E4: D3F300F4 0FD3458A
	v_mfma_f32_16x16x32_fp8_fp8 v[248:251], a[140:141], v[128:129], 0// 00000000B6EC: D3F300F8 0A03018C
	buffer_load_dwordx4 a[12:15], v45, s[12:15], 0 offen       // 00000000B6F4: E05C1000 80830C2D
	s_add_u32 s12, s78, s12                                    // 00000000B6FC: 800C0C4E
	s_addc_u32 s13, 0, s13                                     // 00000000B700: 820D0D80
	v_mfma_f32_16x16x32_fp8_fp8 v[248:251], a[142:143], v[130:131], v[248:251]// 00000000B704: D3F300F8 0FE3058E
	v_mfma_f32_16x16x32_fp8_fp8 v[252:255], a[140:141], v[160:161], 0// 00000000B70C: D3F300FC 0A03418C
	v_mfma_f32_16x16x32_fp8_fp8 v[252:255], a[142:143], v[162:163], v[252:255]// 00000000B714: D3F300FC 0FF3458E
	s_waitcnt vmcnt(45)                                        // 00000000B71C: BF8C8F7D
	v_mfma_f32_16x16x32_fp8_fp8 v[224:227], a[144:145], v[132:133], v[224:227]// 00000000B720: D3F300E0 0F830990
	buffer_load_dwordx4 a[16:19], v42, s[12:15], 0 offen       // 00000000B728: E05C1000 8083102A
	v_mfma_f32_16x16x32_fp8_fp8 v[224:227], a[146:147], v[134:135], v[224:227]// 00000000B730: D3F300E0 0F830D92
	v_mfma_f32_16x16x32_fp8_fp8 v[228:231], a[144:145], v[164:165], v[228:231]// 00000000B738: D3F300E4 0F934990
	v_mfma_f32_16x16x32_fp8_fp8 v[228:231], a[146:147], v[166:167], v[228:231]// 00000000B740: D3F300E4 0F934D92
	v_mfma_f32_16x16x32_fp8_fp8 v[232:235], a[148:149], v[132:133], v[232:235]// 00000000B748: D3F300E8 0FA30994
	buffer_load_dwordx4 a[20:23], v43, s[12:15], 0 offen       // 00000000B750: E05C1000 8083142B
	v_mfma_f32_16x16x32_fp8_fp8 v[232:235], a[150:151], v[134:135], v[232:235]// 00000000B758: D3F300E8 0FA30D96
	v_mfma_f32_16x16x32_fp8_fp8 v[236:239], a[148:149], v[164:165], v[236:239]// 00000000B760: D3F300EC 0FB34994
	v_mfma_f32_16x16x32_fp8_fp8 v[236:239], a[150:151], v[166:167], v[236:239]// 00000000B768: D3F300EC 0FB34D96
	v_mfma_f32_16x16x32_fp8_fp8 v[240:243], a[152:153], v[132:133], v[240:243]// 00000000B770: D3F300F0 0FC30998
	buffer_load_dwordx4 a[24:27], v44, s[12:15], 0 offen       // 00000000B778: E05C1000 8083182C
	v_mfma_f32_16x16x32_fp8_fp8 v[240:243], a[154:155], v[134:135], v[240:243]// 00000000B780: D3F300F0 0FC30D9A
	v_mfma_f32_16x16x32_fp8_fp8 v[244:247], a[152:153], v[164:165], v[244:247]// 00000000B788: D3F300F4 0FD34998
	v_mfma_f32_16x16x32_fp8_fp8 v[244:247], a[154:155], v[166:167], v[244:247]// 00000000B790: D3F300F4 0FD34D9A
	v_mfma_f32_16x16x32_fp8_fp8 v[248:251], a[156:157], v[132:133], v[248:251]// 00000000B798: D3F300F8 0FE3099C
	buffer_load_dwordx4 a[28:31], v45, s[12:15], 0 offen       // 00000000B7A0: E05C1000 80831C2D
	s_add_u32 s12, s78, s12                                    // 00000000B7A8: 800C0C4E
	s_addc_u32 s13, 0, s13                                     // 00000000B7AC: 820D0D80
	v_mfma_f32_16x16x32_fp8_fp8 v[248:251], a[158:159], v[134:135], v[248:251]// 00000000B7B0: D3F300F8 0FE30D9E
	v_mfma_f32_16x16x32_fp8_fp8 v[252:255], a[156:157], v[164:165], v[252:255]// 00000000B7B8: D3F300FC 0FF3499C
	v_mfma_f32_16x16x32_fp8_fp8 v[252:255], a[158:159], v[166:167], v[252:255]// 00000000B7C0: D3F300FC 0FF34D9E
	s_waitcnt vmcnt(45)                                        // 00000000B7C8: BF8C8F7D
	v_mfma_f32_16x16x32_fp8_fp8 v[224:227], a[160:161], v[136:137], v[224:227]// 00000000B7CC: D3F300E0 0F8311A0
	buffer_load_dwordx4 a[32:35], v42, s[12:15], 0 offen       // 00000000B7D4: E05C1000 8083202A
	v_mfma_f32_16x16x32_fp8_fp8 v[224:227], a[162:163], v[138:139], v[224:227]// 00000000B7DC: D3F300E0 0F8315A2
	v_mfma_f32_16x16x32_fp8_fp8 v[228:231], a[160:161], v[168:169], v[228:231]// 00000000B7E4: D3F300E4 0F9351A0
	v_mfma_f32_16x16x32_fp8_fp8 v[228:231], a[162:163], v[170:171], v[228:231]// 00000000B7EC: D3F300E4 0F9355A2
	v_mfma_f32_16x16x32_fp8_fp8 v[232:235], a[164:165], v[136:137], v[232:235]// 00000000B7F4: D3F300E8 0FA311A4
	buffer_load_dwordx4 a[36:39], v43, s[12:15], 0 offen       // 00000000B7FC: E05C1000 8083242B
	v_mfma_f32_16x16x32_fp8_fp8 v[232:235], a[166:167], v[138:139], v[232:235]// 00000000B804: D3F300E8 0FA315A6
	v_mfma_f32_16x16x32_fp8_fp8 v[236:239], a[164:165], v[168:169], v[236:239]// 00000000B80C: D3F300EC 0FB351A4
	v_mfma_f32_16x16x32_fp8_fp8 v[236:239], a[166:167], v[170:171], v[236:239]// 00000000B814: D3F300EC 0FB355A6
	v_mfma_f32_16x16x32_fp8_fp8 v[240:243], a[168:169], v[136:137], v[240:243]// 00000000B81C: D3F300F0 0FC311A8
	buffer_load_dwordx4 a[40:43], v44, s[12:15], 0 offen       // 00000000B824: E05C1000 8083282C
	v_mfma_f32_16x16x32_fp8_fp8 v[240:243], a[170:171], v[138:139], v[240:243]// 00000000B82C: D3F300F0 0FC315AA
	v_mfma_f32_16x16x32_fp8_fp8 v[244:247], a[168:169], v[168:169], v[244:247]// 00000000B834: D3F300F4 0FD351A8
	v_mfma_f32_16x16x32_fp8_fp8 v[244:247], a[170:171], v[170:171], v[244:247]// 00000000B83C: D3F300F4 0FD355AA
	v_mfma_f32_16x16x32_fp8_fp8 v[248:251], a[172:173], v[136:137], v[248:251]// 00000000B844: D3F300F8 0FE311AC
	buffer_load_dwordx4 a[44:47], v45, s[12:15], 0 offen       // 00000000B84C: E05C1000 80832C2D
	s_add_u32 s12, s78, s12                                    // 00000000B854: 800C0C4E
	s_addc_u32 s13, 0, s13                                     // 00000000B858: 820D0D80
	v_mfma_f32_16x16x32_fp8_fp8 v[248:251], a[174:175], v[138:139], v[248:251]// 00000000B85C: D3F300F8 0FE315AE
	v_mfma_f32_16x16x32_fp8_fp8 v[252:255], a[172:173], v[168:169], v[252:255]// 00000000B864: D3F300FC 0FF351AC
	v_mfma_f32_16x16x32_fp8_fp8 v[252:255], a[174:175], v[170:171], v[252:255]// 00000000B86C: D3F300FC 0FF355AE
	s_waitcnt vmcnt(45)                                        // 00000000B874: BF8C8F7D
	v_mfma_f32_16x16x32_fp8_fp8 v[224:227], a[176:177], v[140:141], v[224:227]// 00000000B878: D3F300E0 0F8319B0
	buffer_load_dwordx4 a[48:51], v42, s[12:15], 0 offen       // 00000000B880: E05C1000 8083302A
	v_mfma_f32_16x16x32_fp8_fp8 v[224:227], a[178:179], v[142:143], v[224:227]// 00000000B888: D3F300E0 0F831DB2
	v_mfma_f32_16x16x32_fp8_fp8 v[228:231], a[176:177], v[172:173], v[228:231]// 00000000B890: D3F300E4 0F9359B0
	v_mfma_f32_16x16x32_fp8_fp8 v[228:231], a[178:179], v[174:175], v[228:231]// 00000000B898: D3F300E4 0F935DB2
	v_mfma_f32_16x16x32_fp8_fp8 v[232:235], a[180:181], v[140:141], v[232:235]// 00000000B8A0: D3F300E8 0FA319B4
	buffer_load_dwordx4 a[52:55], v43, s[12:15], 0 offen       // 00000000B8A8: E05C1000 8083342B
	v_mfma_f32_16x16x32_fp8_fp8 v[232:235], a[182:183], v[142:143], v[232:235]// 00000000B8B0: D3F300E8 0FA31DB6
	v_mfma_f32_16x16x32_fp8_fp8 v[236:239], a[180:181], v[172:173], v[236:239]// 00000000B8B8: D3F300EC 0FB359B4
	v_mfma_f32_16x16x32_fp8_fp8 v[236:239], a[182:183], v[174:175], v[236:239]// 00000000B8C0: D3F300EC 0FB35DB6
	v_mfma_f32_16x16x32_fp8_fp8 v[240:243], a[184:185], v[140:141], v[240:243]// 00000000B8C8: D3F300F0 0FC319B8
	buffer_load_dwordx4 a[56:59], v44, s[12:15], 0 offen       // 00000000B8D0: E05C1000 8083382C
	v_mfma_f32_16x16x32_fp8_fp8 v[240:243], a[186:187], v[142:143], v[240:243]// 00000000B8D8: D3F300F0 0FC31DBA
	v_mfma_f32_16x16x32_fp8_fp8 v[244:247], a[184:185], v[172:173], v[244:247]// 00000000B8E0: D3F300F4 0FD359B8
	v_mfma_f32_16x16x32_fp8_fp8 v[244:247], a[186:187], v[174:175], v[244:247]// 00000000B8E8: D3F300F4 0FD35DBA
	v_mfma_f32_16x16x32_fp8_fp8 v[248:251], a[188:189], v[140:141], v[248:251]// 00000000B8F0: D3F300F8 0FE319BC
	buffer_load_dwordx4 a[60:63], v45, s[12:15], 0 offen       // 00000000B8F8: E05C1000 80833C2D
	s_add_u32 s12, s78, s12                                    // 00000000B900: 800C0C4E
	s_addc_u32 s13, 0, s13                                     // 00000000B904: 820D0D80
	v_mfma_f32_16x16x32_fp8_fp8 v[248:251], a[190:191], v[142:143], v[248:251]// 00000000B908: D3F300F8 0FE31DBE
	v_mfma_f32_16x16x32_fp8_fp8 v[252:255], a[188:189], v[172:173], v[252:255]// 00000000B910: D3F300FC 0FF359BC
	v_mfma_f32_16x16x32_fp8_fp8 v[252:255], a[190:191], v[174:175], v[252:255]// 00000000B918: D3F300FC 0FF35DBE
	s_waitcnt vmcnt(45)                                        // 00000000B920: BF8C8F7D
	v_mfma_f32_16x16x32_fp8_fp8 v[224:227], a[192:193], v[144:145], v[224:227]// 00000000B924: D3F300E0 0F8321C0
	buffer_load_dwordx4 a[64:67], v42, s[12:15], 0 offen       // 00000000B92C: E05C1000 8083402A
	v_mfma_f32_16x16x32_fp8_fp8 v[224:227], a[194:195], v[146:147], v[224:227]// 00000000B934: D3F300E0 0F8325C2
	v_mfma_f32_16x16x32_fp8_fp8 v[228:231], a[192:193], v[176:177], v[228:231]// 00000000B93C: D3F300E4 0F9361C0
	v_mfma_f32_16x16x32_fp8_fp8 v[228:231], a[194:195], v[178:179], v[228:231]// 00000000B944: D3F300E4 0F9365C2
	v_mfma_f32_16x16x32_fp8_fp8 v[232:235], a[196:197], v[144:145], v[232:235]// 00000000B94C: D3F300E8 0FA321C4
	buffer_load_dwordx4 a[68:71], v43, s[12:15], 0 offen       // 00000000B954: E05C1000 8083442B
	v_mfma_f32_16x16x32_fp8_fp8 v[232:235], a[198:199], v[146:147], v[232:235]// 00000000B95C: D3F300E8 0FA325C6
	v_mfma_f32_16x16x32_fp8_fp8 v[236:239], a[196:197], v[176:177], v[236:239]// 00000000B964: D3F300EC 0FB361C4
	v_mfma_f32_16x16x32_fp8_fp8 v[236:239], a[198:199], v[178:179], v[236:239]// 00000000B96C: D3F300EC 0FB365C6
	v_mfma_f32_16x16x32_fp8_fp8 v[240:243], a[200:201], v[144:145], v[240:243]// 00000000B974: D3F300F0 0FC321C8
	buffer_load_dwordx4 a[72:75], v44, s[12:15], 0 offen       // 00000000B97C: E05C1000 8083482C
	v_mfma_f32_16x16x32_fp8_fp8 v[240:243], a[202:203], v[146:147], v[240:243]// 00000000B984: D3F300F0 0FC325CA
	v_mfma_f32_16x16x32_fp8_fp8 v[244:247], a[200:201], v[176:177], v[244:247]// 00000000B98C: D3F300F4 0FD361C8
	v_mfma_f32_16x16x32_fp8_fp8 v[244:247], a[202:203], v[178:179], v[244:247]// 00000000B994: D3F300F4 0FD365CA
	v_mfma_f32_16x16x32_fp8_fp8 v[248:251], a[204:205], v[144:145], v[248:251]// 00000000B99C: D3F300F8 0FE321CC
	buffer_load_dwordx4 a[76:79], v45, s[12:15], 0 offen       // 00000000B9A4: E05C1000 80834C2D
	s_add_u32 s12, s78, s12                                    // 00000000B9AC: 800C0C4E
	s_addc_u32 s13, 0, s13                                     // 00000000B9B0: 820D0D80
	v_mfma_f32_16x16x32_fp8_fp8 v[248:251], a[206:207], v[146:147], v[248:251]// 00000000B9B4: D3F300F8 0FE325CE
	v_mfma_f32_16x16x32_fp8_fp8 v[252:255], a[204:205], v[176:177], v[252:255]// 00000000B9BC: D3F300FC 0FF361CC
	v_mfma_f32_16x16x32_fp8_fp8 v[252:255], a[206:207], v[178:179], v[252:255]// 00000000B9C4: D3F300FC 0FF365CE
	s_waitcnt vmcnt(45)                                        // 00000000B9CC: BF8C8F7D
	v_mfma_f32_16x16x32_fp8_fp8 v[224:227], a[208:209], v[148:149], v[224:227]// 00000000B9D0: D3F300E0 0F8329D0
	buffer_load_dwordx4 a[80:83], v42, s[12:15], 0 offen       // 00000000B9D8: E05C1000 8083502A
	v_mfma_f32_16x16x32_fp8_fp8 v[224:227], a[210:211], v[150:151], v[224:227]// 00000000B9E0: D3F300E0 0F832DD2
	v_mfma_f32_16x16x32_fp8_fp8 v[228:231], a[208:209], v[180:181], v[228:231]// 00000000B9E8: D3F300E4 0F9369D0
	v_mfma_f32_16x16x32_fp8_fp8 v[228:231], a[210:211], v[182:183], v[228:231]// 00000000B9F0: D3F300E4 0F936DD2
	v_mfma_f32_16x16x32_fp8_fp8 v[232:235], a[212:213], v[148:149], v[232:235]// 00000000B9F8: D3F300E8 0FA329D4
	buffer_load_dwordx4 a[84:87], v43, s[12:15], 0 offen       // 00000000BA00: E05C1000 8083542B
	v_mfma_f32_16x16x32_fp8_fp8 v[232:235], a[214:215], v[150:151], v[232:235]// 00000000BA08: D3F300E8 0FA32DD6
	v_mfma_f32_16x16x32_fp8_fp8 v[236:239], a[212:213], v[180:181], v[236:239]// 00000000BA10: D3F300EC 0FB369D4
	v_mfma_f32_16x16x32_fp8_fp8 v[236:239], a[214:215], v[182:183], v[236:239]// 00000000BA18: D3F300EC 0FB36DD6
	v_mfma_f32_16x16x32_fp8_fp8 v[240:243], a[216:217], v[148:149], v[240:243]// 00000000BA20: D3F300F0 0FC329D8
	buffer_load_dwordx4 a[88:91], v44, s[12:15], 0 offen       // 00000000BA28: E05C1000 8083582C
	v_mfma_f32_16x16x32_fp8_fp8 v[240:243], a[218:219], v[150:151], v[240:243]// 00000000BA30: D3F300F0 0FC32DDA
	v_mfma_f32_16x16x32_fp8_fp8 v[244:247], a[216:217], v[180:181], v[244:247]// 00000000BA38: D3F300F4 0FD369D8
	v_mfma_f32_16x16x32_fp8_fp8 v[244:247], a[218:219], v[182:183], v[244:247]// 00000000BA40: D3F300F4 0FD36DDA
	v_mfma_f32_16x16x32_fp8_fp8 v[248:251], a[220:221], v[148:149], v[248:251]// 00000000BA48: D3F300F8 0FE329DC
	buffer_load_dwordx4 a[92:95], v45, s[12:15], 0 offen       // 00000000BA50: E05C1000 80835C2D
	s_add_u32 s12, s78, s12                                    // 00000000BA58: 800C0C4E
	s_addc_u32 s13, 0, s13                                     // 00000000BA5C: 820D0D80
	v_mfma_f32_16x16x32_fp8_fp8 v[248:251], a[222:223], v[150:151], v[248:251]// 00000000BA60: D3F300F8 0FE32DDE
	v_mfma_f32_16x16x32_fp8_fp8 v[252:255], a[220:221], v[180:181], v[252:255]// 00000000BA68: D3F300FC 0FF369DC
	v_mfma_f32_16x16x32_fp8_fp8 v[252:255], a[222:223], v[182:183], v[252:255]// 00000000BA70: D3F300FC 0FF36DDE
	s_waitcnt vmcnt(45)                                        // 00000000BA78: BF8C8F7D
	v_mfma_f32_16x16x32_fp8_fp8 v[224:227], a[224:225], v[152:153], v[224:227]// 00000000BA7C: D3F300E0 0F8331E0
	buffer_load_dwordx4 a[96:99], v42, s[12:15], 0 offen       // 00000000BA84: E05C1000 8083602A
	v_mfma_f32_16x16x32_fp8_fp8 v[224:227], a[226:227], v[154:155], v[224:227]// 00000000BA8C: D3F300E0 0F8335E2
	v_mfma_f32_16x16x32_fp8_fp8 v[228:231], a[224:225], v[184:185], v[228:231]// 00000000BA94: D3F300E4 0F9371E0
	v_mfma_f32_16x16x32_fp8_fp8 v[228:231], a[226:227], v[186:187], v[228:231]// 00000000BA9C: D3F300E4 0F9375E2
	v_mfma_f32_16x16x32_fp8_fp8 v[232:235], a[228:229], v[152:153], v[232:235]// 00000000BAA4: D3F300E8 0FA331E4
	buffer_load_dwordx4 a[100:103], v43, s[12:15], 0 offen     // 00000000BAAC: E05C1000 8083642B
	v_mfma_f32_16x16x32_fp8_fp8 v[232:235], a[230:231], v[154:155], v[232:235]// 00000000BAB4: D3F300E8 0FA335E6
	v_mfma_f32_16x16x32_fp8_fp8 v[236:239], a[228:229], v[184:185], v[236:239]// 00000000BABC: D3F300EC 0FB371E4
	v_mfma_f32_16x16x32_fp8_fp8 v[236:239], a[230:231], v[186:187], v[236:239]// 00000000BAC4: D3F300EC 0FB375E6
	v_mfma_f32_16x16x32_fp8_fp8 v[240:243], a[232:233], v[152:153], v[240:243]// 00000000BACC: D3F300F0 0FC331E8
	buffer_load_dwordx4 a[104:107], v44, s[12:15], 0 offen     // 00000000BAD4: E05C1000 8083682C
	v_mfma_f32_16x16x32_fp8_fp8 v[240:243], a[234:235], v[154:155], v[240:243]// 00000000BADC: D3F300F0 0FC335EA
	v_mfma_f32_16x16x32_fp8_fp8 v[244:247], a[232:233], v[184:185], v[244:247]// 00000000BAE4: D3F300F4 0FD371E8
	v_mfma_f32_16x16x32_fp8_fp8 v[244:247], a[234:235], v[186:187], v[244:247]// 00000000BAEC: D3F300F4 0FD375EA
	v_mfma_f32_16x16x32_fp8_fp8 v[248:251], a[236:237], v[152:153], v[248:251]// 00000000BAF4: D3F300F8 0FE331EC
	buffer_load_dwordx4 a[108:111], v45, s[12:15], 0 offen     // 00000000BAFC: E05C1000 80836C2D
	s_add_u32 s12, s78, s12                                    // 00000000BB04: 800C0C4E
	s_addc_u32 s13, 0, s13                                     // 00000000BB08: 820D0D80
	v_mfma_f32_16x16x32_fp8_fp8 v[248:251], a[238:239], v[154:155], v[248:251]// 00000000BB0C: D3F300F8 0FE335EE
	v_mfma_f32_16x16x32_fp8_fp8 v[252:255], a[236:237], v[184:185], v[252:255]// 00000000BB14: D3F300FC 0FF371EC
	v_mfma_f32_16x16x32_fp8_fp8 v[252:255], a[238:239], v[186:187], v[252:255]// 00000000BB1C: D3F300FC 0FF375EE
	s_waitcnt vmcnt(44)                                        // 00000000BB24: BF8C8F7C
	v_mfma_f32_16x16x32_fp8_fp8 v[224:227], a[240:241], v[156:157], v[224:227]// 00000000BB28: D3F300E0 0F8339F0
	buffer_load_dwordx4 a[112:115], v42, s[12:15], 0 offen     // 00000000BB30: E05C1000 8083702A
	v_mfma_f32_16x16x32_fp8_fp8 v[224:227], a[242:243], v[158:159], v[224:227]// 00000000BB38: D3F300E0 0F833DF2
	v_mfma_f32_16x16x32_fp8_fp8 v[228:231], a[240:241], v[188:189], v[228:231]// 00000000BB40: D3F300E4 0F9379F0
	buffer_load_dword v12, v5, s[16:19], 0 offen               // 00000000BB48: E0501000 80040C05
	v_mfma_f32_16x16x32_fp8_fp8 v[228:231], a[242:243], v[190:191], v[228:231]// 00000000BB50: D3F300E4 0F937DF2
	v_mfma_f32_16x16x32_fp8_fp8 v[232:235], a[244:245], v[156:157], v[232:235]// 00000000BB58: D3F300E8 0FA339F4
	buffer_load_dwordx4 a[116:119], v43, s[12:15], 0 offen     // 00000000BB60: E05C1000 8083742B
	v_mfma_f32_16x16x32_fp8_fp8 v[232:235], a[246:247], v[158:159], v[232:235]// 00000000BB68: D3F300E8 0FA33DF6
	v_mfma_f32_16x16x32_fp8_fp8 v[236:239], a[244:245], v[188:189], v[236:239]// 00000000BB70: D3F300EC 0FB379F4
	v_mfma_f32_16x16x32_fp8_fp8 v[236:239], a[246:247], v[190:191], v[236:239]// 00000000BB78: D3F300EC 0FB37DF6
	v_mfma_f32_16x16x32_fp8_fp8 v[240:243], a[248:249], v[156:157], v[240:243]// 00000000BB80: D3F300F0 0FC339F8
	buffer_load_dwordx4 a[120:123], v44, s[12:15], 0 offen     // 00000000BB88: E05C1000 8083782C
	v_mfma_f32_16x16x32_fp8_fp8 v[240:243], a[250:251], v[158:159], v[240:243]// 00000000BB90: D3F300F0 0FC33DFA
	v_mfma_f32_16x16x32_fp8_fp8 v[244:247], a[248:249], v[188:189], v[244:247]// 00000000BB98: D3F300F4 0FD379F8
	v_mfma_f32_16x16x32_fp8_fp8 v[244:247], a[250:251], v[190:191], v[244:247]// 00000000BBA0: D3F300F4 0FD37DFA
	v_mfma_f32_16x16x32_fp8_fp8 v[248:251], a[252:253], v[156:157], v[248:251]// 00000000BBA8: D3F300F8 0FE339FC
	buffer_load_dwordx4 a[124:127], v45, s[12:15], 0 offen     // 00000000BBB0: E05C1000 80837C2D
	v_mfma_f32_16x16x32_fp8_fp8 v[248:251], a[254:255], v[158:159], v[248:251]// 00000000BBB8: D3F300F8 0FE33DFE
	v_mfma_f32_16x16x32_fp8_fp8 v[252:255], a[252:253], v[188:189], v[252:255]// 00000000BBC0: D3F300FC 0FF379FC
	v_mfma_f32_16x16x32_fp8_fp8 v[252:255], a[254:255], v[190:191], v[252:255]// 00000000BBC8: D3F300FC 0FF37DFE
	s_add_u32 s60, 0x200, s80                                  // 00000000BBD0: 803C50FF 00000200
	s_cmp_lt_u32 s60, s81                                      // 00000000BBD8: BF0A513C
	s_cselect_b32 s56, s56, 0                                  // 00000000BBDC: 85388038
	s_cselect_b32 s78, s78, 0                                  // 00000000BBE0: 854E804E
	s_cselect_b32 s79, s79, 0                                  // 00000000BBE4: 854F804F
	s_add_u32 s12, s56, s12                                    // 00000000BBE8: 800C0C38
	s_addc_u32 s13, 0, s13                                     // 00000000BBEC: 820D0D80
	s_add_u32 s16, s79, s16                                    // 00000000BBF0: 8010104F
	s_addc_u32 s17, 0, s17                                     // 00000000BBF4: 82111180
	v_mul_f32_e32 v224, v24, v224                              // 00000000BBF8: 0BC1C118
	v_mul_f32_e32 v225, v24, v225                              // 00000000BBFC: 0BC3C318
	v_mul_f32_e32 v226, v24, v226                              // 00000000BC00: 0BC5C518
	v_mul_f32_e32 v227, v24, v227                              // 00000000BC04: 0BC7C718
	v_mul_f32_dpp v224, v13, v224 row_newbcast:0 row_mask:0xf bank_mask:0xf// 00000000BC08: 0BC1C0FA FF01500D
	v_mul_f32_dpp v225, v13, v225 row_newbcast:1 row_mask:0xf bank_mask:0xf// 00000000BC10: 0BC3C2FA FF01510D
	v_mul_f32_dpp v226, v13, v226 row_newbcast:2 row_mask:0xf bank_mask:0xf// 00000000BC18: 0BC5C4FA FF01520D
	v_mul_f32_dpp v227, v13, v227 row_newbcast:3 row_mask:0xf bank_mask:0xf// 00000000BC20: 0BC7C6FA FF01530D
	v_mul_f32_e32 v224, v20, v224                              // 00000000BC28: 0BC1C114
	v_mul_f32_e32 v225, v20, v225                              // 00000000BC2C: 0BC3C314
	v_mul_f32_e32 v226, v20, v226                              // 00000000BC30: 0BC5C514
	v_mul_f32_e32 v227, v20, v227                              // 00000000BC34: 0BC7C714
	v_mul_f32_e32 v228, v25, v228                              // 00000000BC38: 0BC9C919
	v_mul_f32_e32 v229, v25, v229                              // 00000000BC3C: 0BCBCB19
	v_mul_f32_e32 v230, v25, v230                              // 00000000BC40: 0BCDCD19
	v_mul_f32_e32 v231, v25, v231                              // 00000000BC44: 0BCFCF19
	v_mul_f32_dpp v228, v13, v228 row_newbcast:0 row_mask:0xf bank_mask:0xf// 00000000BC48: 0BC9C8FA FF01500D
	v_mul_f32_dpp v229, v13, v229 row_newbcast:1 row_mask:0xf bank_mask:0xf// 00000000BC50: 0BCBCAFA FF01510D
	v_mul_f32_dpp v230, v13, v230 row_newbcast:2 row_mask:0xf bank_mask:0xf// 00000000BC58: 0BCDCCFA FF01520D
	v_mul_f32_dpp v231, v13, v231 row_newbcast:3 row_mask:0xf bank_mask:0xf// 00000000BC60: 0BCFCEFA FF01530D
	v_mul_f32_e32 v228, v21, v228                              // 00000000BC68: 0BC9C915
	v_mul_f32_e32 v229, v21, v229                              // 00000000BC6C: 0BCBCB15
	v_mul_f32_e32 v230, v21, v230                              // 00000000BC70: 0BCDCD15
	v_mul_f32_e32 v231, v21, v231                              // 00000000BC74: 0BCFCF15
	v_mul_f32_e32 v232, v24, v232                              // 00000000BC78: 0BD1D118
	v_mul_f32_e32 v233, v24, v233                              // 00000000BC7C: 0BD3D318
	v_mul_f32_e32 v234, v24, v234                              // 00000000BC80: 0BD5D518
	v_mul_f32_e32 v235, v24, v235                              // 00000000BC84: 0BD7D718
	v_mul_f32_dpp v232, v13, v232 row_newbcast:4 row_mask:0xf bank_mask:0xf// 00000000BC88: 0BD1D0FA FF01540D
	v_mul_f32_dpp v233, v13, v233 row_newbcast:5 row_mask:0xf bank_mask:0xf// 00000000BC90: 0BD3D2FA FF01550D
	v_mul_f32_dpp v234, v13, v234 row_newbcast:6 row_mask:0xf bank_mask:0xf// 00000000BC98: 0BD5D4FA FF01560D
	v_mul_f32_dpp v235, v13, v235 row_newbcast:7 row_mask:0xf bank_mask:0xf// 00000000BCA0: 0BD7D6FA FF01570D
	v_mul_f32_e32 v232, v20, v232                              // 00000000BCA8: 0BD1D114
	v_mul_f32_e32 v233, v20, v233                              // 00000000BCAC: 0BD3D314
	v_mul_f32_e32 v234, v20, v234                              // 00000000BCB0: 0BD5D514
	v_mul_f32_e32 v235, v20, v235                              // 00000000BCB4: 0BD7D714
	v_mul_f32_e32 v236, v25, v236                              // 00000000BCB8: 0BD9D919
	v_mul_f32_e32 v237, v25, v237                              // 00000000BCBC: 0BDBDB19
	v_mul_f32_e32 v238, v25, v238                              // 00000000BCC0: 0BDDDD19
	v_mul_f32_e32 v239, v25, v239                              // 00000000BCC4: 0BDFDF19
	v_mul_f32_dpp v236, v13, v236 row_newbcast:4 row_mask:0xf bank_mask:0xf// 00000000BCC8: 0BD9D8FA FF01540D
	v_mul_f32_dpp v237, v13, v237 row_newbcast:5 row_mask:0xf bank_mask:0xf// 00000000BCD0: 0BDBDAFA FF01550D
	v_mul_f32_dpp v238, v13, v238 row_newbcast:6 row_mask:0xf bank_mask:0xf// 00000000BCD8: 0BDDDCFA FF01560D
	v_mul_f32_dpp v239, v13, v239 row_newbcast:7 row_mask:0xf bank_mask:0xf// 00000000BCE0: 0BDFDEFA FF01570D
	v_mul_f32_e32 v236, v21, v236                              // 00000000BCE8: 0BD9D915
	v_mul_f32_e32 v237, v21, v237                              // 00000000BCEC: 0BDBDB15
	v_mul_f32_e32 v238, v21, v238                              // 00000000BCF0: 0BDDDD15
	v_mul_f32_e32 v239, v21, v239                              // 00000000BCF4: 0BDFDF15
	v_mul_f32_e32 v240, v24, v240                              // 00000000BCF8: 0BE1E118
	v_mul_f32_e32 v241, v24, v241                              // 00000000BCFC: 0BE3E318
	v_mul_f32_e32 v242, v24, v242                              // 00000000BD00: 0BE5E518
	v_mul_f32_e32 v243, v24, v243                              // 00000000BD04: 0BE7E718
	v_mul_f32_dpp v240, v13, v240 row_newbcast:8 row_mask:0xf bank_mask:0xf// 00000000BD08: 0BE1E0FA FF01580D
	v_mul_f32_dpp v241, v13, v241 row_newbcast:9 row_mask:0xf bank_mask:0xf// 00000000BD10: 0BE3E2FA FF01590D
	v_mul_f32_dpp v242, v13, v242 row_newbcast:10 row_mask:0xf bank_mask:0xf// 00000000BD18: 0BE5E4FA FF015A0D
	v_mul_f32_dpp v243, v13, v243 row_newbcast:11 row_mask:0xf bank_mask:0xf// 00000000BD20: 0BE7E6FA FF015B0D
	v_mul_f32_e32 v240, v20, v240                              // 00000000BD28: 0BE1E114
	v_mul_f32_e32 v241, v20, v241                              // 00000000BD2C: 0BE3E314
	v_mul_f32_e32 v242, v20, v242                              // 00000000BD30: 0BE5E514
	v_mul_f32_e32 v243, v20, v243                              // 00000000BD34: 0BE7E714
	v_mul_f32_e32 v244, v25, v244                              // 00000000BD38: 0BE9E919
	v_mul_f32_e32 v245, v25, v245                              // 00000000BD3C: 0BEBEB19
	v_mul_f32_e32 v246, v25, v246                              // 00000000BD40: 0BEDED19
	v_mul_f32_e32 v247, v25, v247                              // 00000000BD44: 0BEFEF19
	v_mul_f32_dpp v244, v13, v244 row_newbcast:8 row_mask:0xf bank_mask:0xf// 00000000BD48: 0BE9E8FA FF01580D
	v_mul_f32_dpp v245, v13, v245 row_newbcast:9 row_mask:0xf bank_mask:0xf// 00000000BD50: 0BEBEAFA FF01590D
	v_mul_f32_dpp v246, v13, v246 row_newbcast:10 row_mask:0xf bank_mask:0xf// 00000000BD58: 0BEDECFA FF015A0D
	v_mul_f32_dpp v247, v13, v247 row_newbcast:11 row_mask:0xf bank_mask:0xf// 00000000BD60: 0BEFEEFA FF015B0D
	v_mul_f32_e32 v244, v21, v244                              // 00000000BD68: 0BE9E915
	v_mul_f32_e32 v245, v21, v245                              // 00000000BD6C: 0BEBEB15
	v_mul_f32_e32 v246, v21, v246                              // 00000000BD70: 0BEDED15
	v_mul_f32_e32 v247, v21, v247                              // 00000000BD74: 0BEFEF15
	v_mul_f32_e32 v248, v24, v248                              // 00000000BD78: 0BF1F118
	v_mul_f32_e32 v249, v24, v249                              // 00000000BD7C: 0BF3F318
	v_mul_f32_e32 v250, v24, v250                              // 00000000BD80: 0BF5F518
	v_mul_f32_e32 v251, v24, v251                              // 00000000BD84: 0BF7F718
	v_mul_f32_dpp v248, v13, v248 row_newbcast:12 row_mask:0xf bank_mask:0xf// 00000000BD88: 0BF1F0FA FF015C0D
	v_mul_f32_dpp v249, v13, v249 row_newbcast:13 row_mask:0xf bank_mask:0xf// 00000000BD90: 0BF3F2FA FF015D0D
	v_mul_f32_dpp v250, v13, v250 row_newbcast:14 row_mask:0xf bank_mask:0xf// 00000000BD98: 0BF5F4FA FF015E0D
	v_mul_f32_dpp v251, v13, v251 row_newbcast:15 row_mask:0xf bank_mask:0xf// 00000000BDA0: 0BF7F6FA FF015F0D
	v_mul_f32_e32 v248, v20, v248                              // 00000000BDA8: 0BF1F114
	v_mul_f32_e32 v249, v20, v249                              // 00000000BDAC: 0BF3F314
	v_mul_f32_e32 v250, v20, v250                              // 00000000BDB0: 0BF5F514
	v_mul_f32_e32 v251, v20, v251                              // 00000000BDB4: 0BF7F714
	v_mul_f32_e32 v252, v25, v252                              // 00000000BDB8: 0BF9F919
	v_mul_f32_e32 v253, v25, v253                              // 00000000BDBC: 0BFBFB19
	v_mul_f32_e32 v254, v25, v254                              // 00000000BDC0: 0BFDFD19
	v_mul_f32_e32 v255, v25, v255                              // 00000000BDC4: 0BFFFF19
	v_mul_f32_dpp v252, v13, v252 row_newbcast:12 row_mask:0xf bank_mask:0xf// 00000000BDC8: 0BF9F8FA FF015C0D
	v_mul_f32_dpp v253, v13, v253 row_newbcast:13 row_mask:0xf bank_mask:0xf// 00000000BDD0: 0BFBFAFA FF015D0D
	v_mul_f32_dpp v254, v13, v254 row_newbcast:14 row_mask:0xf bank_mask:0xf// 00000000BDD8: 0BFDFCFA FF015E0D
	v_mul_f32_dpp v255, v13, v255 row_newbcast:15 row_mask:0xf bank_mask:0xf// 00000000BDE0: 0BFFFEFA FF015F0D
	v_mul_f32_e32 v252, v21, v252                              // 00000000BDE8: 0BF9F915
	v_mul_f32_e32 v253, v21, v253                              // 00000000BDEC: 0BFBFB15
	v_mul_f32_e32 v254, v21, v254                              // 00000000BDF0: 0BFDFD15
	v_mul_f32_e32 v255, v21, v255                              // 00000000BDF4: 0BFFFF15
	v_cmp_u_f32_e64 s[48:49], v224, v224                       // 00000000BDF8: D0480030 0003C1E0
	v_add3_u32 v46, v224, v49, 1                               // 00000000BE00: D1FF002E 020663E0
	v_cndmask_b32_e64 v52, v46, v48, s[48:49]                  // 00000000BE08: D1000034 00C2612E
	v_cmp_u_f32_e64 s[48:49], v225, v225                       // 00000000BE10: D0480030 0003C3E1
	v_add3_u32 v46, v225, v49, 1                               // 00000000BE18: D1FF002E 020663E1
	v_cndmask_b32_e64 v53, v46, v48, s[48:49]                  // 00000000BE20: D1000035 00C2612E
	v_perm_b32 v224, v53, v52, s52                             // 00000000BE28: D1ED00E0 00D26935
	v_cmp_u_f32_e64 s[48:49], v226, v226                       // 00000000BE30: D0480030 0003C5E2
	v_add3_u32 v46, v226, v49, 1                               // 00000000BE38: D1FF002E 020663E2
	v_cndmask_b32_e64 v52, v46, v48, s[48:49]                  // 00000000BE40: D1000034 00C2612E
	v_cmp_u_f32_e64 s[48:49], v227, v227                       // 00000000BE48: D0480030 0003C7E3
	v_add3_u32 v46, v227, v49, 1                               // 00000000BE50: D1FF002E 020663E3
	v_cndmask_b32_e64 v53, v46, v48, s[48:49]                  // 00000000BE58: D1000035 00C2612E
	v_perm_b32 v225, v53, v52, s52                             // 00000000BE60: D1ED00E1 00D26935
	v_cmp_u_f32_e64 s[48:49], v228, v228                       // 00000000BE68: D0480030 0003C9E4
	v_add3_u32 v46, v228, v49, 1                               // 00000000BE70: D1FF002E 020663E4
	v_cndmask_b32_e64 v52, v46, v48, s[48:49]                  // 00000000BE78: D1000034 00C2612E
	v_cmp_u_f32_e64 s[48:49], v229, v229                       // 00000000BE80: D0480030 0003CBE5
	v_add3_u32 v46, v229, v49, 1                               // 00000000BE88: D1FF002E 020663E5
	v_cndmask_b32_e64 v53, v46, v48, s[48:49]                  // 00000000BE90: D1000035 00C2612E
	v_perm_b32 v226, v53, v52, s52                             // 00000000BE98: D1ED00E2 00D26935
	v_cmp_u_f32_e64 s[48:49], v230, v230                       // 00000000BEA0: D0480030 0003CDE6
	v_add3_u32 v46, v230, v49, 1                               // 00000000BEA8: D1FF002E 020663E6
	v_cndmask_b32_e64 v52, v46, v48, s[48:49]                  // 00000000BEB0: D1000034 00C2612E
	v_cmp_u_f32_e64 s[48:49], v231, v231                       // 00000000BEB8: D0480030 0003CFE7
	v_add3_u32 v46, v231, v49, 1                               // 00000000BEC0: D1FF002E 020663E7
	v_cndmask_b32_e64 v53, v46, v48, s[48:49]                  // 00000000BEC8: D1000035 00C2612E
	v_perm_b32 v227, v53, v52, s52                             // 00000000BED0: D1ED00E3 00D26935
	v_cmp_u_f32_e64 s[48:49], v232, v232                       // 00000000BED8: D0480030 0003D1E8
	v_add3_u32 v46, v232, v49, 1                               // 00000000BEE0: D1FF002E 020663E8
	v_cndmask_b32_e64 v52, v46, v48, s[48:49]                  // 00000000BEE8: D1000034 00C2612E
	v_cmp_u_f32_e64 s[48:49], v233, v233                       // 00000000BEF0: D0480030 0003D3E9
	v_add3_u32 v46, v233, v49, 1                               // 00000000BEF8: D1FF002E 020663E9
	v_cndmask_b32_e64 v53, v46, v48, s[48:49]                  // 00000000BF00: D1000035 00C2612E
	v_perm_b32 v228, v53, v52, s52                             // 00000000BF08: D1ED00E4 00D26935
	v_cmp_u_f32_e64 s[48:49], v234, v234                       // 00000000BF10: D0480030 0003D5EA
	v_add3_u32 v46, v234, v49, 1                               // 00000000BF18: D1FF002E 020663EA
	v_cndmask_b32_e64 v52, v46, v48, s[48:49]                  // 00000000BF20: D1000034 00C2612E
	v_cmp_u_f32_e64 s[48:49], v235, v235                       // 00000000BF28: D0480030 0003D7EB
	v_add3_u32 v46, v235, v49, 1                               // 00000000BF30: D1FF002E 020663EB
	v_cndmask_b32_e64 v53, v46, v48, s[48:49]                  // 00000000BF38: D1000035 00C2612E
	v_perm_b32 v229, v53, v52, s52                             // 00000000BF40: D1ED00E5 00D26935
	v_cmp_u_f32_e64 s[48:49], v236, v236                       // 00000000BF48: D0480030 0003D9EC
	v_add3_u32 v46, v236, v49, 1                               // 00000000BF50: D1FF002E 020663EC
	v_cndmask_b32_e64 v52, v46, v48, s[48:49]                  // 00000000BF58: D1000034 00C2612E
	v_cmp_u_f32_e64 s[48:49], v237, v237                       // 00000000BF60: D0480030 0003DBED
	v_add3_u32 v46, v237, v49, 1                               // 00000000BF68: D1FF002E 020663ED
	v_cndmask_b32_e64 v53, v46, v48, s[48:49]                  // 00000000BF70: D1000035 00C2612E
	v_perm_b32 v230, v53, v52, s52                             // 00000000BF78: D1ED00E6 00D26935
	v_cmp_u_f32_e64 s[48:49], v238, v238                       // 00000000BF80: D0480030 0003DDEE
	v_add3_u32 v46, v238, v49, 1                               // 00000000BF88: D1FF002E 020663EE
	v_cndmask_b32_e64 v52, v46, v48, s[48:49]                  // 00000000BF90: D1000034 00C2612E
	v_cmp_u_f32_e64 s[48:49], v239, v239                       // 00000000BF98: D0480030 0003DFEF
	v_add3_u32 v46, v239, v49, 1                               // 00000000BFA0: D1FF002E 020663EF
	v_cndmask_b32_e64 v53, v46, v48, s[48:49]                  // 00000000BFA8: D1000035 00C2612E
	v_perm_b32 v231, v53, v52, s52                             // 00000000BFB0: D1ED00E7 00D26935
	v_cmp_u_f32_e64 s[48:49], v240, v240                       // 00000000BFB8: D0480030 0003E1F0
	v_add3_u32 v46, v240, v49, 1                               // 00000000BFC0: D1FF002E 020663F0
	v_cndmask_b32_e64 v52, v46, v48, s[48:49]                  // 00000000BFC8: D1000034 00C2612E
	v_cmp_u_f32_e64 s[48:49], v241, v241                       // 00000000BFD0: D0480030 0003E3F1
	v_add3_u32 v46, v241, v49, 1                               // 00000000BFD8: D1FF002E 020663F1
	v_cndmask_b32_e64 v53, v46, v48, s[48:49]                  // 00000000BFE0: D1000035 00C2612E
	v_perm_b32 v232, v53, v52, s52                             // 00000000BFE8: D1ED00E8 00D26935
	v_cmp_u_f32_e64 s[48:49], v242, v242                       // 00000000BFF0: D0480030 0003E5F2
	v_add3_u32 v46, v242, v49, 1                               // 00000000BFF8: D1FF002E 020663F2
	v_cndmask_b32_e64 v52, v46, v48, s[48:49]                  // 00000000C000: D1000034 00C2612E
	v_cmp_u_f32_e64 s[48:49], v243, v243                       // 00000000C008: D0480030 0003E7F3
	v_add3_u32 v46, v243, v49, 1                               // 00000000C010: D1FF002E 020663F3
	v_cndmask_b32_e64 v53, v46, v48, s[48:49]                  // 00000000C018: D1000035 00C2612E
	v_perm_b32 v233, v53, v52, s52                             // 00000000C020: D1ED00E9 00D26935
	v_cmp_u_f32_e64 s[48:49], v244, v244                       // 00000000C028: D0480030 0003E9F4
	v_add3_u32 v46, v244, v49, 1                               // 00000000C030: D1FF002E 020663F4
	v_cndmask_b32_e64 v52, v46, v48, s[48:49]                  // 00000000C038: D1000034 00C2612E
	v_cmp_u_f32_e64 s[48:49], v245, v245                       // 00000000C040: D0480030 0003EBF5
	v_add3_u32 v46, v245, v49, 1                               // 00000000C048: D1FF002E 020663F5
	v_cndmask_b32_e64 v53, v46, v48, s[48:49]                  // 00000000C050: D1000035 00C2612E
	v_perm_b32 v234, v53, v52, s52                             // 00000000C058: D1ED00EA 00D26935
	v_cmp_u_f32_e64 s[48:49], v246, v246                       // 00000000C060: D0480030 0003EDF6
	v_add3_u32 v46, v246, v49, 1                               // 00000000C068: D1FF002E 020663F6
	v_cndmask_b32_e64 v52, v46, v48, s[48:49]                  // 00000000C070: D1000034 00C2612E
	v_cmp_u_f32_e64 s[48:49], v247, v247                       // 00000000C078: D0480030 0003EFF7
	v_add3_u32 v46, v247, v49, 1                               // 00000000C080: D1FF002E 020663F7
	v_cndmask_b32_e64 v53, v46, v48, s[48:49]                  // 00000000C088: D1000035 00C2612E
	v_perm_b32 v235, v53, v52, s52                             // 00000000C090: D1ED00EB 00D26935
	v_cmp_u_f32_e64 s[48:49], v248, v248                       // 00000000C098: D0480030 0003F1F8
	v_add3_u32 v46, v248, v49, 1                               // 00000000C0A0: D1FF002E 020663F8
	v_cndmask_b32_e64 v52, v46, v48, s[48:49]                  // 00000000C0A8: D1000034 00C2612E
	v_cmp_u_f32_e64 s[48:49], v249, v249                       // 00000000C0B0: D0480030 0003F3F9
	v_add3_u32 v46, v249, v49, 1                               // 00000000C0B8: D1FF002E 020663F9
	v_cndmask_b32_e64 v53, v46, v48, s[48:49]                  // 00000000C0C0: D1000035 00C2612E
	v_perm_b32 v236, v53, v52, s52                             // 00000000C0C8: D1ED00EC 00D26935
	v_cmp_u_f32_e64 s[48:49], v250, v250                       // 00000000C0D0: D0480030 0003F5FA
	v_add3_u32 v46, v250, v49, 1                               // 00000000C0D8: D1FF002E 020663FA
	v_cndmask_b32_e64 v52, v46, v48, s[48:49]                  // 00000000C0E0: D1000034 00C2612E
	v_cmp_u_f32_e64 s[48:49], v251, v251                       // 00000000C0E8: D0480030 0003F7FB
	v_add3_u32 v46, v251, v49, 1                               // 00000000C0F0: D1FF002E 020663FB
	v_cndmask_b32_e64 v53, v46, v48, s[48:49]                  // 00000000C0F8: D1000035 00C2612E
	v_perm_b32 v237, v53, v52, s52                             // 00000000C100: D1ED00ED 00D26935
	v_cmp_u_f32_e64 s[48:49], v252, v252                       // 00000000C108: D0480030 0003F9FC
	v_add3_u32 v46, v252, v49, 1                               // 00000000C110: D1FF002E 020663FC
	v_cndmask_b32_e64 v52, v46, v48, s[48:49]                  // 00000000C118: D1000034 00C2612E
	v_cmp_u_f32_e64 s[48:49], v253, v253                       // 00000000C120: D0480030 0003FBFD
	v_add3_u32 v46, v253, v49, 1                               // 00000000C128: D1FF002E 020663FD
	v_cndmask_b32_e64 v53, v46, v48, s[48:49]                  // 00000000C130: D1000035 00C2612E
	v_perm_b32 v238, v53, v52, s52                             // 00000000C138: D1ED00EE 00D26935
	v_cmp_u_f32_e64 s[48:49], v254, v254                       // 00000000C140: D0480030 0003FDFE
	v_add3_u32 v46, v254, v49, 1                               // 00000000C148: D1FF002E 020663FE
	v_cndmask_b32_e64 v52, v46, v48, s[48:49]                  // 00000000C150: D1000034 00C2612E
	v_cmp_u_f32_e64 s[48:49], v255, v255                       // 00000000C158: D0480030 0003FFFF
	v_add3_u32 v46, v255, v49, 1                               // 00000000C160: D1FF002E 020663FF
	v_cndmask_b32_e64 v53, v46, v48, s[48:49]                  // 00000000C168: D1000035 00C2612E
	v_perm_b32 v239, v53, v52, s52                             // 00000000C170: D1ED00EF 00D26935
	ds_write_b64 v3, v[224:225] offset:35072                   // 00000000C178: D89A8900 0000E003
	ds_write_b64 v3, v[226:227] offset:43776                   // 00000000C180: D89AAB00 0000E203
	ds_write_b64 v3, v[228:229] offset:37248                   // 00000000C188: D89A9180 0000E403
	ds_write_b64 v3, v[230:231] offset:45952                   // 00000000C190: D89AB380 0000E603
	ds_write_b64 v3, v[232:233] offset:39424                   // 00000000C198: D89A9A00 0000E803
	ds_write_b64 v3, v[234:235] offset:48128                   // 00000000C1A0: D89ABC00 0000EA03
	ds_write_b64 v3, v[236:237] offset:41600                   // 00000000C1A8: D89AA280 0000EC03
	ds_write_b64 v3, v[238:239] offset:50304                   // 00000000C1B0: D89AC480 0000EE03
	s_waitcnt lgkmcnt(0)                                       // 00000000C1B8: BF8CC07F
	s_barrier                                                  // 00000000C1BC: BF8A0000
	ds_read_b32 v64, v4 offset:35072                           // 00000000C1C0: D86C8900 40000004
	ds_read_b32 v65, v4 offset:39424                           // 00000000C1C8: D86C9A00 41000004
	ds_read_b32 v66, v4 offset:35104                           // 00000000C1D0: D86C8920 42000004
	ds_read_b32 v67, v4 offset:39456                           // 00000000C1D8: D86C9A20 43000004
	ds_read_b32 v68, v4 offset:35136                           // 00000000C1E0: D86C8940 44000004
	ds_read_b32 v69, v4 offset:39488                           // 00000000C1E8: D86C9A40 45000004
	ds_read_b32 v70, v4 offset:35168                           // 00000000C1F0: D86C8960 46000004
	ds_read_b32 v71, v4 offset:39520                           // 00000000C1F8: D86C9A60 47000004
	ds_read_b32 v72, v4 offset:43776                           // 00000000C200: D86CAB00 48000004
	ds_read_b32 v73, v4 offset:48128                           // 00000000C208: D86CBC00 49000004
	ds_read_b32 v74, v4 offset:43808                           // 00000000C210: D86CAB20 4A000004
	ds_read_b32 v75, v4 offset:48160                           // 00000000C218: D86CBC20 4B000004
	ds_read_b32 v76, v4 offset:43840                           // 00000000C220: D86CAB40 4C000004
	ds_read_b32 v77, v4 offset:48192                           // 00000000C228: D86CBC40 4D000004
	ds_read_b32 v78, v4 offset:43872                           // 00000000C230: D86CAB60 4E000004
	ds_read_b32 v79, v4 offset:48224                           // 00000000C238: D86CBC60 4F000004
	s_waitcnt lgkmcnt(0)                                       // 00000000C240: BF8CC07F
	s_mov_b64 exec, s[20:21]                                   // 00000000C244: BEFE0114
	global_atomic_pk_add_bf16 v80, v64, s[8:9]                 // 00000000C248: DD488000 00084050
	s_mov_b64 exec, s[36:37]                                   // 00000000C250: BEFE0124
	s_mov_b64 exec, s[20:21]                                   // 00000000C254: BEFE0114
	global_atomic_pk_add_bf16 v80, v65, s[8:9] offset:256      // 00000000C258: DD488100 00084150
	s_mov_b64 exec, s[36:37]                                   // 00000000C260: BEFE0124
	s_mov_b64 exec, s[22:23]                                   // 00000000C264: BEFE0116
	global_atomic_pk_add_bf16 v82, v66, s[8:9]                 // 00000000C268: DD488000 00084252
	s_mov_b64 exec, s[36:37]                                   // 00000000C270: BEFE0124
	s_mov_b64 exec, s[22:23]                                   // 00000000C274: BEFE0116
	global_atomic_pk_add_bf16 v82, v67, s[8:9] offset:256      // 00000000C278: DD488100 00084352
	s_mov_b64 exec, s[36:37]                                   // 00000000C280: BEFE0124
	s_mov_b64 exec, s[24:25]                                   // 00000000C284: BEFE0118
	global_atomic_pk_add_bf16 v84, v68, s[8:9]                 // 00000000C288: DD488000 00084454
	s_mov_b64 exec, s[36:37]                                   // 00000000C290: BEFE0124
	s_mov_b64 exec, s[24:25]                                   // 00000000C294: BEFE0118
	global_atomic_pk_add_bf16 v84, v69, s[8:9] offset:256      // 00000000C298: DD488100 00084554
	s_mov_b64 exec, s[36:37]                                   // 00000000C2A0: BEFE0124
	s_mov_b64 exec, s[26:27]                                   // 00000000C2A4: BEFE011A
	global_atomic_pk_add_bf16 v86, v70, s[8:9]                 // 00000000C2A8: DD488000 00084656
	s_mov_b64 exec, s[36:37]                                   // 00000000C2B0: BEFE0124
	s_mov_b64 exec, s[26:27]                                   // 00000000C2B4: BEFE011A
	global_atomic_pk_add_bf16 v86, v71, s[8:9] offset:256      // 00000000C2B8: DD488100 00084756
	s_mov_b64 exec, s[36:37]                                   // 00000000C2C0: BEFE0124
	s_mov_b64 exec, s[28:29]                                   // 00000000C2C4: BEFE011C
	global_atomic_pk_add_bf16 v88, v72, s[8:9]                 // 00000000C2C8: DD488000 00084858
	s_mov_b64 exec, s[36:37]                                   // 00000000C2D0: BEFE0124
	s_mov_b64 exec, s[28:29]                                   // 00000000C2D4: BEFE011C
	global_atomic_pk_add_bf16 v88, v73, s[8:9] offset:256      // 00000000C2D8: DD488100 00084958
	s_mov_b64 exec, s[36:37]                                   // 00000000C2E0: BEFE0124
	s_mov_b64 exec, s[30:31]                                   // 00000000C2E4: BEFE011E
	global_atomic_pk_add_bf16 v90, v74, s[8:9]                 // 00000000C2E8: DD488000 00084A5A
	s_mov_b64 exec, s[36:37]                                   // 00000000C2F0: BEFE0124
	s_mov_b64 exec, s[30:31]                                   // 00000000C2F4: BEFE011E
	global_atomic_pk_add_bf16 v90, v75, s[8:9] offset:256      // 00000000C2F8: DD488100 00084B5A
	s_mov_b64 exec, s[36:37]                                   // 00000000C300: BEFE0124
	s_mov_b64 exec, s[32:33]                                   // 00000000C304: BEFE0120
	global_atomic_pk_add_bf16 v92, v76, s[8:9]                 // 00000000C308: DD488000 00084C5C
	s_mov_b64 exec, s[36:37]                                   // 00000000C310: BEFE0124
	s_mov_b64 exec, s[32:33]                                   // 00000000C314: BEFE0120
	global_atomic_pk_add_bf16 v92, v77, s[8:9] offset:256      // 00000000C318: DD488100 00084D5C
	s_mov_b64 exec, s[36:37]                                   // 00000000C320: BEFE0124
	s_mov_b64 exec, s[34:35]                                   // 00000000C324: BEFE0122
	global_atomic_pk_add_bf16 v94, v78, s[8:9]                 // 00000000C328: DD488000 00084E5E
	s_mov_b64 exec, s[36:37]                                   // 00000000C330: BEFE0124
	s_mov_b64 exec, s[34:35]                                   // 00000000C334: BEFE0122
	global_atomic_pk_add_bf16 v94, v79, s[8:9] offset:256      // 00000000C338: DD488100 00084F5E
	s_mov_b64 exec, s[36:37]                                   // 00000000C340: BEFE0124
	s_add_u32 s8, s59, s8                                      // 00000000C344: 8008083B
	s_addc_u32 s9, 0, s9                                       // 00000000C348: 82090980
	s_addk_i32 s80, 0x100                                      // 00000000C34C: B7500100
	s_cmp_lt_i32 s80, s81                                      // 00000000C350: BF045150
	s_cbranch_scc0 label_145E                                  // 00000000C354: BF84EE48
	s_branch label_1FA0                                        // 00000000C358: BF82F989

000000000000c35c <label_2617>:
	s_waitcnt vmcnt(0) expcnt(0) lgkmcnt(0)                    // 00000000C35C: BF8C0000
	s_endpgm                                                   // 00000000C360: BF810000
